;; amdgpu-corpus repo=zjin-lcf/HeCBench kind=compiled arch=gfx1100 opt=O3
	.text
	.amdgcn_target "amdgcn-amd-amdhsa--gfx1100"
	.amdhsa_code_object_version 6
	.protected	_Z24kernel_128_winograd_BtdBPKfPf ; -- Begin function _Z24kernel_128_winograd_BtdBPKfPf
	.globl	_Z24kernel_128_winograd_BtdBPKfPf
	.p2align	8
	.type	_Z24kernel_128_winograd_BtdBPKfPf,@function
_Z24kernel_128_winograd_BtdBPKfPf:      ; @_Z24kernel_128_winograd_BtdBPKfPf
; %bb.0:
	v_bfe_u32 v1, v0, 10, 10
	v_and_b32_e32 v0, 0x3ff, v0
	s_load_b128 s[0:3], s[0:1], 0x0
	s_lshl_b32 s4, s14, 13
	s_lshl_b32 s5, s15, 9
	s_delay_alu instid0(VALU_DEP_1) | instskip(NEXT) | instid1(VALU_DEP_1)
	v_lshl_add_u32 v14, v1, 7, v0
	v_add3_u32 v2, s4, s5, v14
	s_delay_alu instid0(VALU_DEP_1) | instskip(NEXT) | instid1(VALU_DEP_1)
	v_ashrrev_i32_e32 v3, 31, v2
	v_lshlrev_b64 v[2:3], 2, v[2:3]
	s_waitcnt lgkmcnt(0)
	s_delay_alu instid0(VALU_DEP_1) | instskip(NEXT) | instid1(VALU_DEP_2)
	v_add_co_u32 v2, vcc_lo, s0, v2
	v_add_co_ci_u32_e32 v3, vcc_lo, s1, v3, vcc_lo
	s_mov_b32 s0, 0
	s_delay_alu instid0(VALU_DEP_2) | instskip(NEXT) | instid1(VALU_DEP_2)
	v_add_co_u32 v4, vcc_lo, 0x2000, v2
	v_add_co_ci_u32_e32 v5, vcc_lo, 0, v3, vcc_lo
	v_add_co_u32 v6, vcc_lo, 0x4000, v2
	v_add_co_ci_u32_e32 v7, vcc_lo, 0, v3, vcc_lo
	;; [unrolled: 2-line block ×5, first 2 shown]
	s_clause 0x5
	global_load_b32 v3, v[2:3], off
	global_load_b32 v4, v[4:5], off
	;; [unrolled: 1-line block ×6, first 2 shown]
	v_lshl_add_u32 v2, v14, 2, 0
	s_mov_b32 s1, exec_lo
                                        ; implicit-def: $vgpr9
	s_waitcnt vmcnt(4)
	ds_store_2addr_stride64_b32 v2, v3, v4 offset1:12
	s_waitcnt vmcnt(2)
	ds_store_2addr_stride64_b32 v2, v5, v6 offset0:24 offset1:36
	s_waitcnt vmcnt(0)
	ds_store_2addr_stride64_b32 v2, v7, v8 offset0:48 offset1:60
	s_waitcnt lgkmcnt(0)
	s_barrier
	buffer_gl0_inv
                                        ; implicit-def: $vgpr3
                                        ; implicit-def: $vgpr5
                                        ; implicit-def: $vgpr4
                                        ; implicit-def: $vgpr7
                                        ; implicit-def: $vgpr6
                                        ; implicit-def: $vgpr8
	v_cmpx_lt_i32_e32 2, v1
	s_xor_b32 s1, exec_lo, s1
	s_cbranch_execnz .LBB0_9
; %bb.1:
	s_and_not1_saveexec_b32 s1, s1
	s_cbranch_execnz .LBB0_20
.LBB0_2:
	s_or_b32 exec_lo, exec_lo, s1
                                        ; implicit-def: $vgpr10
	s_and_saveexec_b32 s1, s0
	s_cbranch_execz .LBB0_4
.LBB0_3:
	v_add_nc_u32_e32 v9, v0, v9
	s_delay_alu instid0(VALU_DEP_1)
	v_lshl_add_u32 v9, v9, 2, 0
	ds_load_b32 v9, v9
	s_waitcnt lgkmcnt(0)
	v_add_f32_e32 v10, v9, v8
.LBB0_4:
	s_or_b32 exec_lo, exec_lo, s1
	v_mul_u32_u24_e32 v8, 0x280, v1
	s_mov_b32 s0, 0
	s_mov_b32 s1, exec_lo
	s_barrier
	s_delay_alu instid0(VALU_DEP_1)
	v_lshl_add_u32 v2, v8, 2, v2
	buffer_gl0_inv
                                        ; implicit-def: $vgpr8
	ds_store_2addr_stride64_b32 v2, v6, v7 offset1:2
	ds_store_2addr_stride64_b32 v2, v4, v5 offset0:4 offset1:6
	ds_store_2addr_stride64_b32 v2, v3, v10 offset0:8 offset1:10
	s_waitcnt lgkmcnt(0)
	s_barrier
	buffer_gl0_inv
                                        ; implicit-def: $vgpr2
                                        ; implicit-def: $vgpr3
                                        ; implicit-def: $vgpr4
                                        ; implicit-def: $vgpr5
                                        ; implicit-def: $vgpr6
                                        ; implicit-def: $vgpr7
	v_cmpx_lt_i32_e32 2, v1
	s_xor_b32 s1, exec_lo, s1
	s_cbranch_execnz .LBB0_29
; %bb.5:
	s_and_not1_saveexec_b32 s1, s1
	s_cbranch_execnz .LBB0_40
.LBB0_6:
	s_or_b32 exec_lo, exec_lo, s1
                                        ; implicit-def: $vgpr9
	s_and_saveexec_b32 s1, s0
	s_cbranch_execz .LBB0_8
.LBB0_7:
	v_add_nc_u32_e32 v8, v0, v8
	s_delay_alu instid0(VALU_DEP_1)
	v_lshl_add_u32 v8, v8, 2, 0
	ds_load_b32 v8, v8
	s_waitcnt lgkmcnt(0)
	v_add_f32_e32 v9, v8, v7
.LBB0_8:
	s_or_b32 exec_lo, exec_lo, s1
	v_lshlrev_b32_e32 v7, 11, v1
	v_mov_b32_e32 v1, 0
	s_lshl_b32 s0, s14, 9
	s_lshl_b32 s1, s15, 7
	s_delay_alu instid0(SALU_CYCLE_1) | instskip(NEXT) | instid1(VALU_DEP_1)
	s_add_i32 s0, s0, s1
	v_mov_b32_e32 v8, v1
	v_add3_u32 v0, s0, v0, v7
	s_barrier
	buffer_gl0_inv
	v_add_nc_u32_e32 v12, 0x6000, v0
	v_add_nc_u32_e32 v7, 0x3000, v0
	v_lshlrev_b64 v[10:11], 2, v[0:1]
	v_dual_mov_b32 v13, v1 :: v_dual_add_nc_u32 v14, 0x9000, v0
	v_dual_mov_b32 v15, v1 :: v_dual_add_nc_u32 v16, 0xc000, v0
	s_delay_alu instid0(VALU_DEP_4) | instskip(NEXT) | instid1(VALU_DEP_4)
	v_lshlrev_b64 v[7:8], 2, v[7:8]
	v_add_co_u32 v10, vcc_lo, s2, v10
	s_delay_alu instid0(VALU_DEP_4)
	v_lshlrev_b64 v[12:13], 2, v[12:13]
	v_dual_mov_b32 v17, v1 :: v_dual_add_nc_u32 v0, 0xf000, v0
	v_add_co_ci_u32_e32 v11, vcc_lo, s3, v11, vcc_lo
	v_add_co_u32 v7, vcc_lo, s2, v7
	v_lshlrev_b64 v[14:15], 2, v[14:15]
	v_add_co_ci_u32_e32 v8, vcc_lo, s3, v8, vcc_lo
	v_add_co_u32 v12, vcc_lo, s2, v12
	v_lshlrev_b64 v[16:17], 2, v[16:17]
	;; [unrolled: 3-line block ×3, first 2 shown]
	v_add_co_ci_u32_e32 v15, vcc_lo, s3, v15, vcc_lo
	v_add_co_u32 v16, vcc_lo, s2, v16
	v_add_co_ci_u32_e32 v17, vcc_lo, s3, v17, vcc_lo
	s_delay_alu instid0(VALU_DEP_4)
	v_add_co_u32 v0, vcc_lo, s2, v0
	v_add_co_ci_u32_e32 v1, vcc_lo, s3, v1, vcc_lo
	s_clause 0x5
	global_store_b32 v[10:11], v6, off
	global_store_b32 v[7:8], v5, off
	;; [unrolled: 1-line block ×6, first 2 shown]
	s_nop 0
	s_sendmsg sendmsg(MSG_DEALLOC_VGPRS)
	s_endpgm
.LBB0_9:
	s_mov_b32 s4, 0
	s_mov_b32 s0, exec_lo
                                        ; implicit-def: $vgpr3
                                        ; implicit-def: $vgpr5
                                        ; implicit-def: $vgpr4
                                        ; implicit-def: $vgpr7
                                        ; implicit-def: $vgpr6
                                        ; implicit-def: $vgpr8
                                        ; implicit-def: $vgpr9
	v_cmpx_lt_i32_e32 3, v1
	s_xor_b32 s0, exec_lo, s0
	s_cbranch_execz .LBB0_17
; %bb.10:
	s_mov_b32 s5, exec_lo
                                        ; implicit-def: $vgpr3
                                        ; implicit-def: $vgpr5
                                        ; implicit-def: $vgpr4
                                        ; implicit-def: $vgpr7
                                        ; implicit-def: $vgpr6
                                        ; implicit-def: $vgpr8
                                        ; implicit-def: $sgpr7
	v_cmpx_lt_i32_e32 4, v1
	s_xor_b32 s5, exec_lo, s5
	s_cbranch_execz .LBB0_14
; %bb.11:
	s_mov_b32 s4, exec_lo
	v_cmpx_ne_u32_e32 5, v1
	s_xor_b32 s4, exec_lo, s4
	s_delay_alu instid0(SALU_CYCLE_1)
	s_or_saveexec_b32 s4, s4
	s_mov_b32 s6, 0
                                        ; implicit-def: $vgpr3
                                        ; implicit-def: $vgpr5
                                        ; implicit-def: $vgpr4
                                        ; implicit-def: $vgpr7
                                        ; implicit-def: $vgpr6
                                        ; implicit-def: $vgpr8
                                        ; implicit-def: $sgpr7
	s_xor_b32 exec_lo, exec_lo, s4
	s_cbranch_execz .LBB0_13
; %bb.12:
	v_lshl_add_u32 v19, v0, 2, 0
	s_mov_b32 s6, exec_lo
	s_movk_i32 s7, 0x1180
	ds_load_2addr_stride64_b32 v[3:4], v19 offset0:36 offset1:38
	ds_load_2addr_stride64_b32 v[5:6], v19 offset0:40 offset1:42
	;; [unrolled: 1-line block ×8, first 2 shown]
	ds_load_b32 v19, v19 offset:17408
	s_waitcnt lgkmcnt(8)
	v_dual_mul_f32 v3, 0x40a00000, v3 :: v_dual_mul_f32 v4, 0x40a00000, v4
	s_waitcnt lgkmcnt(7)
	v_dual_mul_f32 v5, 0x40a00000, v5 :: v_dual_mul_f32 v6, 0x40a00000, v6
	;; [unrolled: 2-line block ×3, first 2 shown]
	s_waitcnt lgkmcnt(5)
	v_fma_f32 v3, v9, 4.0, -v3
	v_fma_f32 v4, v10, 4.0, -v4
	s_waitcnt lgkmcnt(4)
	v_fma_f32 v5, v11, 4.0, -v5
	v_fma_f32 v9, v12, 4.0, -v6
	s_waitcnt lgkmcnt(3)
	v_fma_f32 v10, v13, 4.0, -v7
	s_waitcnt lgkmcnt(2)
	v_dual_add_f32 v6, v15, v3 :: v_dual_add_f32 v7, v16, v4
	s_waitcnt lgkmcnt(1)
	v_add_f32_e32 v4, v17, v5
	v_add_f32_e32 v5, v18, v9
	s_waitcnt lgkmcnt(0)
	v_add_f32_e32 v3, v19, v10
	v_fma_f32 v8, v14, 4.0, -v8
.LBB0_13:
	s_or_b32 exec_lo, exec_lo, s4
	s_delay_alu instid0(SALU_CYCLE_1)
	s_and_b32 s4, s6, exec_lo
.LBB0_14:
	s_or_saveexec_b32 s5, s5
	v_mov_b32_e32 v9, s7
	s_xor_b32 exec_lo, exec_lo, s5
	s_cbranch_execz .LBB0_16
; %bb.15:
	v_lshl_add_u32 v25, v0, 2, 0
	s_or_b32 s4, s4, exec_lo
	ds_load_2addr_stride64_b32 v[3:4], v25 offset0:12 offset1:14
	ds_load_2addr_stride64_b32 v[5:6], v25 offset0:24 offset1:26
	;; [unrolled: 1-line block ×11, first 2 shown]
	ds_load_b32 v25, v25 offset:14336
	s_waitcnt lgkmcnt(10)
	v_fma_f32 v3, v3, 2.0, -v5
	v_fma_f32 v4, v4, 2.0, -v6
	s_waitcnt lgkmcnt(8)
	v_fma_f32 v5, v7, 2.0, -v9
	v_fma_f32 v9, v8, 2.0, -v10
	;; [unrolled: 3-line block ×3, first 2 shown]
	s_waitcnt lgkmcnt(5)
	v_dual_fmac_f32 v3, -2.0, v15 :: v_dual_fmac_f32 v4, -2.0, v16
	s_waitcnt lgkmcnt(3)
	v_dual_fmac_f32 v5, -2.0, v17 :: v_dual_fmac_f32 v10, -2.0, v19
	v_dual_fmac_f32 v9, -2.0, v18 :: v_dual_fmac_f32 v8, -2.0, v20
	s_waitcnt lgkmcnt(2)
	v_dual_add_f32 v6, v21, v3 :: v_dual_add_f32 v7, v22, v4
	s_waitcnt lgkmcnt(0)
	v_dual_add_f32 v4, v23, v5 :: v_dual_add_f32 v3, v25, v10
	v_add_f32_e32 v5, v24, v9
	v_mov_b32_e32 v9, 0xe80
.LBB0_16:
	s_or_b32 exec_lo, exec_lo, s5
	s_delay_alu instid0(SALU_CYCLE_1)
	s_and_b32 s4, s4, exec_lo
.LBB0_17:
	s_and_not1_saveexec_b32 s0, s0
	s_cbranch_execz .LBB0_19
; %bb.18:
	v_lshl_add_u32 v25, v0, 2, 0
	s_or_b32 s4, s4, exec_lo
	ds_load_2addr_stride64_b32 v[3:4], v25 offset0:12 offset1:14
	ds_load_2addr_stride64_b32 v[5:6], v25 offset0:24 offset1:26
	;; [unrolled: 1-line block ×11, first 2 shown]
	ds_load_b32 v25, v25 offset:14336
	s_waitcnt lgkmcnt(10)
	v_fma_f32 v3, v3, -2.0, -v5
	v_fma_f32 v4, v4, -2.0, -v6
	s_waitcnt lgkmcnt(8)
	v_fma_f32 v5, v7, -2.0, -v9
	v_fma_f32 v9, v8, -2.0, -v10
	;; [unrolled: 3-line block ×3, first 2 shown]
	s_waitcnt lgkmcnt(5)
	v_dual_fmac_f32 v3, 2.0, v15 :: v_dual_fmac_f32 v4, 2.0, v16
	s_waitcnt lgkmcnt(3)
	v_dual_fmac_f32 v5, 2.0, v17 :: v_dual_fmac_f32 v10, 2.0, v19
	v_dual_fmac_f32 v9, 2.0, v18 :: v_dual_fmac_f32 v8, 2.0, v20
	s_waitcnt lgkmcnt(2)
	v_dual_add_f32 v6, v21, v3 :: v_dual_add_f32 v7, v22, v4
	s_waitcnt lgkmcnt(0)
	v_dual_add_f32 v4, v23, v5 :: v_dual_add_f32 v3, v25, v10
	v_add_f32_e32 v5, v24, v9
	v_mov_b32_e32 v9, 0xe80
.LBB0_19:
	s_or_b32 exec_lo, exec_lo, s0
	s_delay_alu instid0(SALU_CYCLE_1)
	s_and_b32 s0, s4, exec_lo
	s_and_not1_saveexec_b32 s1, s1
	s_cbranch_execz .LBB0_2
.LBB0_20:
	s_mov_b32 s4, exec_lo
                                        ; implicit-def: $vgpr3
                                        ; implicit-def: $vgpr5
                                        ; implicit-def: $vgpr4
                                        ; implicit-def: $vgpr7
                                        ; implicit-def: $vgpr6
                                        ; implicit-def: $vgpr8
                                        ; implicit-def: $vgpr9
	v_cmpx_lt_i32_e32 0, v1
	s_xor_b32 s4, exec_lo, s4
	s_cbranch_execz .LBB0_26
; %bb.21:
	s_mov_b32 s5, exec_lo
                                        ; implicit-def: $vgpr3
                                        ; implicit-def: $vgpr5
                                        ; implicit-def: $vgpr4
                                        ; implicit-def: $vgpr7
                                        ; implicit-def: $vgpr6
                                        ; implicit-def: $vgpr8
                                        ; implicit-def: $sgpr6
	v_cmpx_lt_i32_e32 1, v1
	s_xor_b32 s5, exec_lo, s5
	s_cbranch_execz .LBB0_23
; %bb.22:
	v_lshl_add_u32 v25, v0, 2, 0
	s_movk_i32 s6, 0xe80
	ds_load_2addr_stride64_b32 v[3:4], v25 offset0:24 offset1:26
	ds_load_2addr_stride64_b32 v[5:6], v25 offset0:28 offset1:30
	;; [unrolled: 1-line block ×11, first 2 shown]
	ds_load_b32 v25, v25 offset:14336
	s_waitcnt lgkmcnt(11)
	v_dual_mul_f32 v3, 4.0, v3 :: v_dual_mul_f32 v4, 4.0, v4
	s_waitcnt lgkmcnt(10)
	v_dual_mul_f32 v5, 4.0, v5 :: v_dual_mul_f32 v6, 4.0, v6
	;; [unrolled: 2-line block ×3, first 2 shown]
	s_waitcnt lgkmcnt(8)
	v_fma_f32 v3, v9, 4.0, -v3
	v_fma_f32 v4, v10, 4.0, -v4
	s_waitcnt lgkmcnt(7)
	v_fma_f32 v5, v11, 4.0, -v5
	v_fma_f32 v6, v12, 4.0, -v6
	;; [unrolled: 3-line block ×3, first 2 shown]
	s_waitcnt lgkmcnt(5)
	v_dual_sub_f32 v3, v3, v15 :: v_dual_sub_f32 v4, v4, v16
	s_waitcnt lgkmcnt(3)
	v_dual_sub_f32 v5, v5, v17 :: v_dual_sub_f32 v10, v7, v19
	s_waitcnt lgkmcnt(2)
	s_delay_alu instid0(VALU_DEP_2) | instskip(SKIP_1) | instid1(VALU_DEP_2)
	v_dual_sub_f32 v9, v6, v18 :: v_dual_add_f32 v6, v21, v3
	s_waitcnt lgkmcnt(1)
	v_dual_add_f32 v7, v22, v4 :: v_dual_add_f32 v4, v23, v5
	s_waitcnt lgkmcnt(0)
	v_dual_add_f32 v3, v25, v10 :: v_dual_sub_f32 v8, v8, v20
	v_add_f32_e32 v5, v24, v9
.LBB0_23:
	s_or_saveexec_b32 s5, s5
	v_mov_b32_e32 v9, s6
	s_xor_b32 exec_lo, exec_lo, s5
	s_cbranch_execz .LBB0_25
; %bb.24:
	v_lshl_add_u32 v25, v0, 2, 0
	ds_load_2addr_stride64_b32 v[3:4], v25 offset0:24 offset1:26
	ds_load_2addr_stride64_b32 v[5:6], v25 offset0:28 offset1:30
	;; [unrolled: 1-line block ×11, first 2 shown]
	ds_load_b32 v25, v25 offset:14336
	s_waitcnt lgkmcnt(11)
	v_dual_mul_f32 v3, -4.0, v3 :: v_dual_mul_f32 v4, -4.0, v4
	s_waitcnt lgkmcnt(10)
	v_dual_mul_f32 v5, -4.0, v5 :: v_dual_mul_f32 v6, -4.0, v6
	;; [unrolled: 2-line block ×3, first 2 shown]
	s_waitcnt lgkmcnt(8)
	v_dual_fmac_f32 v3, -4.0, v9 :: v_dual_fmac_f32 v4, -4.0, v10
	s_waitcnt lgkmcnt(7)
	v_dual_fmac_f32 v5, -4.0, v11 :: v_dual_fmac_f32 v6, -4.0, v12
	;; [unrolled: 2-line block ×3, first 2 shown]
	s_waitcnt lgkmcnt(5)
	v_dual_add_f32 v3, v15, v3 :: v_dual_add_f32 v4, v16, v4
	s_waitcnt lgkmcnt(3)
	s_delay_alu instid0(VALU_DEP_2)
	v_dual_add_f32 v5, v17, v5 :: v_dual_add_f32 v10, v19, v7
	v_dual_add_f32 v9, v18, v6 :: v_dual_add_f32 v8, v20, v8
	s_waitcnt lgkmcnt(2)
	v_dual_add_f32 v6, v21, v3 :: v_dual_add_f32 v7, v22, v4
	s_waitcnt lgkmcnt(0)
	v_dual_add_f32 v4, v23, v5 :: v_dual_add_f32 v3, v25, v10
	v_add_f32_e32 v5, v24, v9
	v_mov_b32_e32 v9, 0xe80
.LBB0_25:
	s_or_b32 exec_lo, exec_lo, s5
.LBB0_26:
	s_and_not1_saveexec_b32 s4, s4
	s_cbranch_execz .LBB0_28
; %bb.27:
	v_lshl_add_u32 v19, v0, 2, 0
	ds_load_2addr_stride64_b32 v[3:4], v19 offset0:24 offset1:26
	ds_load_2addr_stride64_b32 v[5:6], v19 offset0:28 offset1:30
	;; [unrolled: 1-line block ×3, first 2 shown]
	ds_load_2addr_stride64_b32 v[9:10], v19 offset1:2
	ds_load_2addr_stride64_b32 v[11:12], v19 offset0:4 offset1:6
	ds_load_2addr_stride64_b32 v[13:14], v19 offset0:8 offset1:10
	;; [unrolled: 1-line block ×4, first 2 shown]
	ds_load_b32 v19, v19 offset:14336
	s_waitcnt lgkmcnt(8)
	v_dual_mul_f32 v3, 0x40a00000, v3 :: v_dual_mul_f32 v4, 0x40a00000, v4
	s_waitcnt lgkmcnt(7)
	v_dual_mul_f32 v5, 0x40a00000, v5 :: v_dual_mul_f32 v6, 0x40a00000, v6
	;; [unrolled: 2-line block ×3, first 2 shown]
	s_waitcnt lgkmcnt(5)
	v_fma_f32 v3, v9, 4.0, -v3
	v_fma_f32 v4, v10, 4.0, -v4
	s_waitcnt lgkmcnt(4)
	v_fma_f32 v5, v11, 4.0, -v5
	v_fma_f32 v9, v12, 4.0, -v6
	;; [unrolled: 3-line block ×3, first 2 shown]
	s_waitcnt lgkmcnt(2)
	v_dual_add_f32 v6, v15, v3 :: v_dual_add_f32 v7, v16, v4
	s_waitcnt lgkmcnt(0)
	v_dual_add_f32 v4, v17, v5 :: v_dual_add_f32 v3, v19, v10
	v_add_f32_e32 v5, v18, v9
	v_mov_b32_e32 v9, 0xe80
.LBB0_28:
	s_or_b32 exec_lo, exec_lo, s4
	s_delay_alu instid0(SALU_CYCLE_1)
	s_or_b32 s0, s0, exec_lo
	s_or_b32 exec_lo, exec_lo, s1
                                        ; implicit-def: $vgpr10
	s_and_saveexec_b32 s1, s0
	s_cbranch_execnz .LBB0_3
	s_branch .LBB0_4
.LBB0_29:
	s_mov_b32 s4, 0
	s_mov_b32 s0, exec_lo
                                        ; implicit-def: $vgpr2
                                        ; implicit-def: $vgpr3
                                        ; implicit-def: $vgpr4
                                        ; implicit-def: $vgpr5
                                        ; implicit-def: $vgpr6
                                        ; implicit-def: $vgpr7
                                        ; implicit-def: $vgpr8
	v_cmpx_lt_i32_e32 3, v1
	s_xor_b32 s0, exec_lo, s0
	s_cbranch_execz .LBB0_37
; %bb.30:
	s_mov_b32 s5, exec_lo
                                        ; implicit-def: $vgpr2
                                        ; implicit-def: $vgpr3
                                        ; implicit-def: $vgpr4
                                        ; implicit-def: $vgpr5
                                        ; implicit-def: $vgpr6
                                        ; implicit-def: $vgpr7
                                        ; implicit-def: $sgpr7
	v_cmpx_lt_i32_e32 4, v1
	s_xor_b32 s5, exec_lo, s5
	s_cbranch_execz .LBB0_34
; %bb.31:
	s_mov_b32 s4, exec_lo
	v_cmpx_ne_u32_e32 5, v1
	s_xor_b32 s4, exec_lo, s4
	s_delay_alu instid0(SALU_CYCLE_1)
	s_or_saveexec_b32 s4, s4
	s_mov_b32 s6, 0
                                        ; implicit-def: $vgpr2
                                        ; implicit-def: $vgpr3
                                        ; implicit-def: $vgpr4
                                        ; implicit-def: $vgpr5
                                        ; implicit-def: $vgpr6
                                        ; implicit-def: $vgpr7
                                        ; implicit-def: $sgpr7
	s_xor_b32 exec_lo, exec_lo, s4
	s_cbranch_execz .LBB0_33
; %bb.32:
	v_lshl_add_u32 v16, v0, 2, 0
	s_mov_b32 s6, exec_lo
	s_movk_i32 s7, 0x1180
	ds_load_2addr_stride64_b32 v[2:3], v16 offset0:2 offset1:6
	ds_load_2addr_stride64_b32 v[4:5], v16 offset0:18 offset1:22
	;; [unrolled: 1-line block ×5, first 2 shown]
	ds_load_b32 v18, v16 offset:16896
	ds_load_2addr_stride64_b32 v[12:13], v16 offset0:10 offset1:14
	ds_load_2addr_stride64_b32 v[14:15], v16 offset0:34 offset1:38
	;; [unrolled: 1-line block ×3, first 2 shown]
	s_waitcnt lgkmcnt(7)
	v_dual_mul_f32 v3, 0x40a00000, v3 :: v_dual_mul_f32 v4, 0x40a00000, v4
	s_waitcnt lgkmcnt(5)
	v_dual_mul_f32 v7, 0x40a00000, v7 :: v_dual_mul_f32 v8, 0x40a00000, v8
	;; [unrolled: 2-line block ×3, first 2 shown]
	v_fma_f32 v2, v2, 4.0, -v3
	s_waitcnt lgkmcnt(2)
	v_fma_f32 v3, v13, 4.0, -v4
	v_fma_f32 v4, v6, 4.0, -v7
	s_waitcnt lgkmcnt(1)
	v_fma_f32 v7, v15, 4.0, -v8
	v_fma_f32 v8, v10, 4.0, -v11
	v_dual_add_f32 v6, v12, v2 :: v_dual_add_f32 v5, v5, v3
	s_delay_alu instid0(VALU_DEP_3) | instskip(SKIP_1) | instid1(VALU_DEP_3)
	v_dual_add_f32 v4, v14, v4 :: v_dual_add_f32 v3, v9, v7
	s_waitcnt lgkmcnt(0)
	v_add_f32_e32 v2, v16, v8
	v_fma_f32 v7, v17, 4.0, -v18
.LBB0_33:
	s_or_b32 exec_lo, exec_lo, s4
	s_delay_alu instid0(SALU_CYCLE_1)
	s_and_b32 s4, s6, exec_lo
.LBB0_34:
	s_or_saveexec_b32 s5, s5
	v_mov_b32_e32 v8, s7
	s_xor_b32 exec_lo, exec_lo, s5
	s_cbranch_execz .LBB0_36
; %bb.35:
	v_lshl_add_u32 v24, v0, 2, 0
	s_or_b32 s4, s4, exec_lo
	ds_load_2addr_stride64_b32 v[2:3], v24 offset0:2 offset1:4
	ds_load_2addr_stride64_b32 v[4:5], v24 offset0:14 offset1:16
	;; [unrolled: 1-line block ×11, first 2 shown]
	ds_load_b32 v24, v24 offset:16896
	s_waitcnt lgkmcnt(11)
	v_fma_f32 v2, v2, 2.0, -v3
	s_waitcnt lgkmcnt(10)
	v_fma_f32 v3, v4, 2.0, -v5
	;; [unrolled: 2-line block ×6, first 2 shown]
	s_waitcnt lgkmcnt(4)
	v_dual_fmac_f32 v2, -2.0, v14 :: v_dual_fmac_f32 v3, -2.0, v16
	s_waitcnt lgkmcnt(3)
	v_fmac_f32_e32 v4, -2.0, v18
	s_waitcnt lgkmcnt(1)
	v_dual_fmac_f32 v8, -2.0, v20 :: v_dual_fmac_f32 v9, -2.0, v22
	s_waitcnt lgkmcnt(0)
	v_dual_fmac_f32 v7, -2.0, v24 :: v_dual_add_f32 v6, v15, v2
	v_dual_add_f32 v5, v17, v3 :: v_dual_add_f32 v4, v19, v4
	s_delay_alu instid0(VALU_DEP_3)
	v_dual_add_f32 v3, v21, v8 :: v_dual_add_f32 v2, v23, v9
	v_mov_b32_e32 v8, 0x1100
.LBB0_36:
	s_or_b32 exec_lo, exec_lo, s5
	s_delay_alu instid0(SALU_CYCLE_1)
	s_and_b32 s4, s4, exec_lo
.LBB0_37:
	s_and_not1_saveexec_b32 s0, s0
	s_cbranch_execz .LBB0_39
; %bb.38:
	v_lshl_add_u32 v24, v0, 2, 0
	s_or_b32 s4, s4, exec_lo
	ds_load_2addr_stride64_b32 v[2:3], v24 offset0:2 offset1:4
	ds_load_2addr_stride64_b32 v[4:5], v24 offset0:14 offset1:16
	;; [unrolled: 1-line block ×11, first 2 shown]
	ds_load_b32 v24, v24 offset:16896
	s_waitcnt lgkmcnt(11)
	v_fma_f32 v2, v2, -2.0, -v3
	s_waitcnt lgkmcnt(10)
	v_fma_f32 v3, v4, -2.0, -v5
	;; [unrolled: 2-line block ×6, first 2 shown]
	s_waitcnt lgkmcnt(4)
	v_dual_fmac_f32 v2, 2.0, v14 :: v_dual_fmac_f32 v3, 2.0, v16
	s_waitcnt lgkmcnt(3)
	v_fmac_f32_e32 v4, 2.0, v18
	s_waitcnt lgkmcnt(1)
	v_dual_fmac_f32 v8, 2.0, v20 :: v_dual_fmac_f32 v9, 2.0, v22
	s_waitcnt lgkmcnt(0)
	v_dual_fmac_f32 v7, 2.0, v24 :: v_dual_add_f32 v6, v15, v2
	v_dual_add_f32 v5, v17, v3 :: v_dual_add_f32 v4, v19, v4
	s_delay_alu instid0(VALU_DEP_3)
	v_dual_add_f32 v3, v21, v8 :: v_dual_add_f32 v2, v23, v9
	v_mov_b32_e32 v8, 0x1100
.LBB0_39:
	s_or_b32 exec_lo, exec_lo, s0
	s_delay_alu instid0(SALU_CYCLE_1)
	s_and_b32 s0, s4, exec_lo
	s_and_not1_saveexec_b32 s1, s1
	s_cbranch_execz .LBB0_6
.LBB0_40:
	s_mov_b32 s4, exec_lo
                                        ; implicit-def: $vgpr2
                                        ; implicit-def: $vgpr3
                                        ; implicit-def: $vgpr4
                                        ; implicit-def: $vgpr5
                                        ; implicit-def: $vgpr6
                                        ; implicit-def: $vgpr7
                                        ; implicit-def: $vgpr8
	v_cmpx_lt_i32_e32 0, v1
	s_xor_b32 s4, exec_lo, s4
	s_cbranch_execz .LBB0_46
; %bb.41:
	s_mov_b32 s5, exec_lo
                                        ; implicit-def: $vgpr2
                                        ; implicit-def: $vgpr3
                                        ; implicit-def: $vgpr4
                                        ; implicit-def: $vgpr5
                                        ; implicit-def: $vgpr6
                                        ; implicit-def: $vgpr7
                                        ; implicit-def: $sgpr6
	v_cmpx_lt_i32_e32 1, v1
	s_xor_b32 s5, exec_lo, s5
	s_cbranch_execz .LBB0_43
; %bb.42:
	v_lshl_add_u32 v24, v0, 2, 0
	s_movk_i32 s6, 0x1100
	ds_load_2addr_stride64_b32 v[2:3], v24 offset0:2 offset1:4
	ds_load_2addr_stride64_b32 v[4:5], v24 offset0:14 offset1:16
	;; [unrolled: 1-line block ×11, first 2 shown]
	ds_load_b32 v24, v24 offset:16896
	s_waitcnt lgkmcnt(11)
	v_mul_f32_e32 v3, 4.0, v3
	s_waitcnt lgkmcnt(10)
	v_mul_f32_e32 v5, 4.0, v5
	s_delay_alu instid0(VALU_DEP_2) | instskip(NEXT) | instid1(VALU_DEP_2)
	v_fma_f32 v2, v2, 4.0, -v3
	v_fma_f32 v3, v4, 4.0, -v5
	s_waitcnt lgkmcnt(5)
	s_delay_alu instid0(VALU_DEP_2) | instskip(SKIP_3) | instid1(VALU_DEP_2)
	v_dual_mul_f32 v13, 4.0, v13 :: v_dual_sub_f32 v2, v2, v14
	v_mul_f32_e32 v9, 4.0, v9
	s_waitcnt lgkmcnt(4)
	v_sub_f32_e32 v3, v3, v16
	v_fma_f32 v5, v8, 4.0, -v9
	s_waitcnt lgkmcnt(2)
	s_delay_alu instid0(VALU_DEP_1) | instskip(NEXT) | instid1(VALU_DEP_1)
	v_dual_mul_f32 v7, 4.0, v7 :: v_dual_sub_f32 v8, v5, v20
	v_fma_f32 v4, v6, 4.0, -v7
	v_fma_f32 v7, v12, 4.0, -v13
	s_delay_alu instid0(VALU_DEP_2) | instskip(SKIP_1) | instid1(VALU_DEP_2)
	v_dual_sub_f32 v4, v4, v18 :: v_dual_mul_f32 v11, 4.0, v11
	s_waitcnt lgkmcnt(0)
	v_sub_f32_e32 v7, v7, v24
	s_delay_alu instid0(VALU_DEP_2) | instskip(NEXT) | instid1(VALU_DEP_3)
	v_add_f32_e32 v4, v19, v4
	v_fma_f32 v6, v10, 4.0, -v11
	s_delay_alu instid0(VALU_DEP_1) | instskip(SKIP_1) | instid1(VALU_DEP_2)
	v_sub_f32_e32 v9, v6, v22
	v_dual_add_f32 v6, v15, v2 :: v_dual_add_f32 v5, v17, v3
	v_dual_add_f32 v3, v21, v8 :: v_dual_add_f32 v2, v23, v9
.LBB0_43:
	s_or_saveexec_b32 s5, s5
	v_mov_b32_e32 v8, s6
	s_xor_b32 exec_lo, exec_lo, s5
	s_cbranch_execz .LBB0_45
; %bb.44:
	v_lshl_add_u32 v24, v0, 2, 0
	ds_load_2addr_stride64_b32 v[2:3], v24 offset0:2 offset1:4
	ds_load_2addr_stride64_b32 v[4:5], v24 offset0:14 offset1:16
	;; [unrolled: 1-line block ×11, first 2 shown]
	ds_load_b32 v24, v24 offset:16896
	s_waitcnt lgkmcnt(8)
	v_mul_f32_e32 v9, -4.0, v9
	s_waitcnt lgkmcnt(6)
	v_mul_f32_e32 v13, -4.0, v13
	s_delay_alu instid0(VALU_DEP_2) | instskip(SKIP_1) | instid1(VALU_DEP_1)
	v_fmac_f32_e32 v9, -4.0, v8
	s_waitcnt lgkmcnt(2)
	v_dual_mul_f32 v3, -4.0, v3 :: v_dual_add_f32 v8, v20, v9
	s_delay_alu instid0(VALU_DEP_1) | instskip(NEXT) | instid1(VALU_DEP_1)
	v_fmac_f32_e32 v3, -4.0, v2
	v_dual_mul_f32 v5, -4.0, v5 :: v_dual_add_f32 v2, v14, v3
	v_mul_f32_e32 v7, -4.0, v7
	s_delay_alu instid0(VALU_DEP_2) | instskip(NEXT) | instid1(VALU_DEP_2)
	v_fmac_f32_e32 v5, -4.0, v4
	v_fmac_f32_e32 v7, -4.0, v6
	s_delay_alu instid0(VALU_DEP_2) | instskip(NEXT) | instid1(VALU_DEP_2)
	v_dual_add_f32 v6, v15, v2 :: v_dual_add_f32 v3, v16, v5
	v_add_f32_e32 v4, v18, v7
	v_mul_f32_e32 v11, -4.0, v11
	s_delay_alu instid0(VALU_DEP_3) | instskip(SKIP_1) | instid1(VALU_DEP_3)
	v_add_f32_e32 v5, v17, v3
	v_dual_add_f32 v3, v21, v8 :: v_dual_mov_b32 v8, 0x1100
	v_dual_add_f32 v4, v19, v4 :: v_dual_fmac_f32 v11, -4.0, v10
	v_fmac_f32_e32 v13, -4.0, v12
	s_waitcnt lgkmcnt(1)
	s_delay_alu instid0(VALU_DEP_2) | instskip(SKIP_1) | instid1(VALU_DEP_2)
	v_add_f32_e32 v9, v22, v11
	s_waitcnt lgkmcnt(0)
	v_add_f32_e32 v7, v24, v13
	s_delay_alu instid0(VALU_DEP_2)
	v_add_f32_e32 v2, v23, v9
.LBB0_45:
	s_or_b32 exec_lo, exec_lo, s5
.LBB0_46:
	s_and_not1_saveexec_b32 s4, s4
	s_cbranch_execz .LBB0_48
; %bb.47:
	v_lshl_add_u32 v16, v0, 2, 0
	ds_load_2addr_stride64_b32 v[2:3], v16 offset1:4
	ds_load_2addr_stride64_b32 v[4:5], v16 offset0:16 offset1:20
	ds_load_2addr_stride64_b32 v[6:7], v16 offset0:24 offset1:28
	;; [unrolled: 1-line block ×4, first 2 shown]
	ds_load_b32 v18, v16 offset:16384
	ds_load_2addr_stride64_b32 v[12:13], v16 offset0:8 offset1:12
	ds_load_2addr_stride64_b32 v[14:15], v16 offset0:32 offset1:36
	ds_load_2addr_stride64_b32 v[16:17], v16 offset0:56 offset1:60
	s_waitcnt lgkmcnt(7)
	v_dual_mul_f32 v3, 0x40a00000, v3 :: v_dual_mul_f32 v4, 0x40a00000, v4
	s_waitcnt lgkmcnt(5)
	v_dual_mul_f32 v7, 0x40a00000, v7 :: v_dual_mul_f32 v8, 0x40a00000, v8
	;; [unrolled: 2-line block ×3, first 2 shown]
	v_fma_f32 v2, v2, 4.0, -v3
	s_waitcnt lgkmcnt(2)
	v_fma_f32 v3, v13, 4.0, -v4
	v_fma_f32 v4, v6, 4.0, -v7
	s_waitcnt lgkmcnt(1)
	v_fma_f32 v8, v15, 4.0, -v8
	;; [unrolled: 3-line block ×3, first 2 shown]
	v_dual_add_f32 v6, v12, v2 :: v_dual_add_f32 v5, v5, v3
	v_add_f32_e32 v4, v14, v4
	v_dual_add_f32 v3, v9, v8 :: v_dual_add_f32 v2, v16, v10
	v_mov_b32_e32 v8, 0x1100
.LBB0_48:
	s_or_b32 exec_lo, exec_lo, s4
	s_delay_alu instid0(SALU_CYCLE_1)
	s_or_b32 s0, s0, exec_lo
	s_or_b32 exec_lo, exec_lo, s1
                                        ; implicit-def: $vgpr9
	s_and_saveexec_b32 s1, s0
	s_cbranch_execnz .LBB0_7
	s_branch .LBB0_8
	.section	.rodata,"a",@progbits
	.p2align	6, 0x0
	.amdhsa_kernel _Z24kernel_128_winograd_BtdBPKfPf
		.amdhsa_group_segment_fixed_size 0
		.amdhsa_private_segment_fixed_size 0
		.amdhsa_kernarg_size 16
		.amdhsa_user_sgpr_count 14
		.amdhsa_user_sgpr_dispatch_ptr 0
		.amdhsa_user_sgpr_queue_ptr 0
		.amdhsa_user_sgpr_kernarg_segment_ptr 1
		.amdhsa_user_sgpr_dispatch_id 0
		.amdhsa_user_sgpr_private_segment_size 0
		.amdhsa_wavefront_size32 1
		.amdhsa_uses_dynamic_stack 0
		.amdhsa_enable_private_segment 0
		.amdhsa_system_sgpr_workgroup_id_x 1
		.amdhsa_system_sgpr_workgroup_id_y 1
		.amdhsa_system_sgpr_workgroup_id_z 0
		.amdhsa_system_sgpr_workgroup_info 0
		.amdhsa_system_vgpr_workitem_id 1
		.amdhsa_next_free_vgpr 26
		.amdhsa_next_free_sgpr 16
		.amdhsa_reserve_vcc 1
		.amdhsa_float_round_mode_32 0
		.amdhsa_float_round_mode_16_64 0
		.amdhsa_float_denorm_mode_32 3
		.amdhsa_float_denorm_mode_16_64 3
		.amdhsa_dx10_clamp 1
		.amdhsa_ieee_mode 1
		.amdhsa_fp16_overflow 0
		.amdhsa_workgroup_processor_mode 1
		.amdhsa_memory_ordered 1
		.amdhsa_forward_progress 0
		.amdhsa_shared_vgpr_count 0
		.amdhsa_exception_fp_ieee_invalid_op 0
		.amdhsa_exception_fp_denorm_src 0
		.amdhsa_exception_fp_ieee_div_zero 0
		.amdhsa_exception_fp_ieee_overflow 0
		.amdhsa_exception_fp_ieee_underflow 0
		.amdhsa_exception_fp_ieee_inexact 0
		.amdhsa_exception_int_div_zero 0
	.end_amdhsa_kernel
	.text
.Lfunc_end0:
	.size	_Z24kernel_128_winograd_BtdBPKfPf, .Lfunc_end0-_Z24kernel_128_winograd_BtdBPKfPf
                                        ; -- End function
	.section	.AMDGPU.csdata,"",@progbits
; Kernel info:
; codeLenInByte = 4160
; NumSgprs: 18
; NumVgprs: 26
; ScratchSize: 0
; MemoryBound: 0
; FloatMode: 240
; IeeeMode: 1
; LDSByteSize: 0 bytes/workgroup (compile time only)
; SGPRBlocks: 2
; VGPRBlocks: 3
; NumSGPRsForWavesPerEU: 18
; NumVGPRsForWavesPerEU: 26
; Occupancy: 16
; WaveLimiterHint : 1
; COMPUTE_PGM_RSRC2:SCRATCH_EN: 0
; COMPUTE_PGM_RSRC2:USER_SGPR: 14
; COMPUTE_PGM_RSRC2:TRAP_HANDLER: 0
; COMPUTE_PGM_RSRC2:TGID_X_EN: 1
; COMPUTE_PGM_RSRC2:TGID_Y_EN: 1
; COMPUTE_PGM_RSRC2:TGID_Z_EN: 0
; COMPUTE_PGM_RSRC2:TIDIG_COMP_CNT: 1
	.text
	.protected	_Z24kernel_128_winograd_AtIAPKfS0_S0_Pf ; -- Begin function _Z24kernel_128_winograd_AtIAPKfS0_S0_Pf
	.globl	_Z24kernel_128_winograd_AtIAPKfS0_S0_Pf
	.p2align	8
	.type	_Z24kernel_128_winograd_AtIAPKfS0_S0_Pf,@function
_Z24kernel_128_winograd_AtIAPKfS0_S0_Pf: ; @_Z24kernel_128_winograd_AtIAPKfS0_S0_Pf
; %bb.0:
	v_bfe_u32 v1, v0, 10, 10
	v_and_b32_e32 v0, 0x3ff, v0
	s_load_b256 s[0:7], s[0:1], 0x0
	s_lshl_b32 s9, s14, 7
	s_lshl_b32 s10, s13, 9
	s_add_i32 s9, s9, s15
	v_mad_u32_u24 v6, v0, 6, v1
	s_mov_b32 s8, s15
	v_mov_b32_e32 v8, 0
	s_delay_alu instid0(VALU_DEP_2) | instskip(NEXT) | instid1(VALU_DEP_1)
	v_lshlrev_b32_e32 v2, 11, v6
	v_add3_u32 v2, s9, s10, v2
	s_ashr_i32 s9, s15, 31
	s_delay_alu instid0(VALU_DEP_1) | instskip(NEXT) | instid1(VALU_DEP_1)
	v_ashrrev_i32_e32 v3, 31, v2
	v_lshlrev_b64 v[2:3], 2, v[2:3]
	s_waitcnt lgkmcnt(0)
	s_delay_alu instid0(VALU_DEP_1) | instskip(NEXT) | instid1(VALU_DEP_2)
	v_add_co_u32 v2, vcc_lo, s0, v2
	v_add_co_ci_u32_e32 v3, vcc_lo, s1, v3, vcc_lo
	s_lshl_b64 s[0:1], s[8:9], 2
	s_delay_alu instid0(SALU_CYCLE_1)
	s_add_u32 s2, s2, s0
	global_load_b32 v7, v[2:3], off
	s_addc_u32 s3, s3, s1
	s_add_u32 s0, s4, s0
	s_addc_u32 s1, s5, s1
	s_load_b32 s2, s[2:3], 0x0
	s_load_b32 s0, s[0:1], 0x0
	v_lshl_add_u32 v3, v6, 2, 8
	s_waitcnt lgkmcnt(0)
	v_dual_mov_b32 v4, s2 :: v_dual_mov_b32 v5, s0
	v_mul_u32_u24_e32 v2, 6, v0
	s_mov_b32 s0, exec_lo
	ds_store_b64 v8, v[4:5]
	s_waitcnt vmcnt(0)
	ds_store_b32 v3, v7
	s_waitcnt lgkmcnt(0)
	s_barrier
	buffer_gl0_inv
                                        ; implicit-def: $vgpr4
	v_cmpx_lt_i32_e32 1, v0
	s_xor_b32 s0, exec_lo, s0
	s_cbranch_execz .LBB1_8
; %bb.1:
	s_mov_b32 s1, exec_lo
                                        ; implicit-def: $vgpr4
	v_cmpx_lt_i32_e32 2, v0
	s_xor_b32 s1, exec_lo, s1
	s_cbranch_execz .LBB1_5
; %bb.2:
	v_mov_b32_e32 v4, 0
	s_mov_b32 s2, exec_lo
	v_cmpx_eq_u32_e32 3, v0
	s_cbranch_execz .LBB1_4
; %bb.3:
	v_lshl_add_u32 v8, v1, 2, 8
	ds_load_2addr_b32 v[4:5], v8 offset0:6 offset1:12
	ds_load_2addr_b32 v[6:7], v8 offset0:18 offset1:24
	ds_load_b32 v8, v8 offset:120
	s_waitcnt lgkmcnt(2)
	v_sub_f32_e32 v4, v4, v5
	s_waitcnt lgkmcnt(1)
	s_delay_alu instid0(VALU_DEP_1) | instskip(NEXT) | instid1(VALU_DEP_1)
	v_fmamk_f32 v4, v6, 0x41000000, v4
	v_fmamk_f32 v4, v7, 0xc1000000, v4
	s_waitcnt lgkmcnt(0)
	s_delay_alu instid0(VALU_DEP_1)
	v_add_f32_e32 v4, v8, v4
.LBB1_4:
	s_or_b32 exec_lo, exec_lo, s2
.LBB1_5:
	s_and_not1_saveexec_b32 s1, s1
	s_cbranch_execz .LBB1_7
; %bb.6:
	v_lshl_add_u32 v6, v1, 2, 8
	ds_load_2addr_b32 v[4:5], v6 offset0:6 offset1:12
	ds_load_2addr_b32 v[6:7], v6 offset0:18 offset1:24
	s_waitcnt lgkmcnt(1)
	v_add_f32_e32 v4, v4, v5
	s_waitcnt lgkmcnt(0)
	s_delay_alu instid0(VALU_DEP_1) | instskip(NEXT) | instid1(VALU_DEP_1)
	v_fmac_f32_e32 v4, 4.0, v6
	v_fmac_f32_e32 v4, 4.0, v7
.LBB1_7:
	s_or_b32 exec_lo, exec_lo, s1
.LBB1_8:
	s_and_not1_saveexec_b32 s0, s0
	s_cbranch_execz .LBB1_14
; %bb.9:
	v_lshl_add_u32 v5, v1, 2, 8
	s_mov_b32 s1, exec_lo
                                        ; implicit-def: $vgpr4
	v_cmpx_lt_i32_e32 0, v0
	s_xor_b32 s1, exec_lo, s1
	s_cbranch_execz .LBB1_11
; %bb.10:
	ds_load_2addr_b32 v[6:7], v5 offset0:6 offset1:12
	ds_load_2addr_b32 v[8:9], v5 offset0:18 offset1:24
                                        ; implicit-def: $vgpr5
	s_waitcnt lgkmcnt(1)
	v_sub_f32_e32 v4, v6, v7
	s_waitcnt lgkmcnt(0)
	s_delay_alu instid0(VALU_DEP_1) | instskip(NEXT) | instid1(VALU_DEP_1)
	v_fmac_f32_e32 v4, 2.0, v8
	v_fmac_f32_e32 v4, -2.0, v9
.LBB1_11:
	s_and_not1_saveexec_b32 s1, s1
	s_cbranch_execz .LBB1_13
; %bb.12:
	ds_load_2addr_b32 v[6:7], v5 offset1:6
	ds_load_2addr_b32 v[8:9], v5 offset0:12 offset1:18
	ds_load_b32 v4, v5 offset:96
	s_waitcnt lgkmcnt(2)
	v_add_f32_e32 v5, v6, v7
	s_waitcnt lgkmcnt(1)
	s_delay_alu instid0(VALU_DEP_1) | instskip(NEXT) | instid1(VALU_DEP_1)
	v_add_f32_e32 v5, v5, v8
	v_add_f32_e32 v5, v5, v9
	s_waitcnt lgkmcnt(0)
	s_delay_alu instid0(VALU_DEP_1)
	v_add_f32_e32 v4, v5, v4
.LBB1_13:
	s_or_b32 exec_lo, exec_lo, s1
.LBB1_14:
	s_delay_alu instid0(SALU_CYCLE_1)
	s_or_b32 exec_lo, exec_lo, s0
	s_barrier
	buffer_gl0_inv
	ds_store_b32 v3, v4
	s_waitcnt lgkmcnt(0)
	s_barrier
	buffer_gl0_inv
	s_mov_b32 s0, exec_lo
	v_cmpx_gt_u32_e32 4, v0
	s_cbranch_execz .LBB1_20
; %bb.15:
	v_cmp_gt_u32_e32 vcc_lo, 2, v0
	s_cmp_lg_u32 s13, 3
	s_cselect_b32 s0, -1, 0
	s_delay_alu instid0(SALU_CYCLE_1) | instskip(NEXT) | instid1(SALU_CYCLE_1)
	s_or_b32 s0, s0, vcc_lo
	s_and_b32 exec_lo, exec_lo, s0
	s_cbranch_execz .LBB1_20
; %bb.16:
	s_mov_b32 s1, 0
	s_mov_b32 s0, exec_lo
                                        ; implicit-def: $vgpr4
                                        ; implicit-def: $vgpr3
	v_cmpx_lt_i32_e32 1, v1
	s_xor_b32 s0, exec_lo, s0
	s_cbranch_execnz .LBB1_21
; %bb.17:
	s_and_not1_saveexec_b32 s0, s0
	s_cbranch_execnz .LBB1_34
.LBB1_18:
	s_or_b32 exec_lo, exec_lo, s0
	s_delay_alu instid0(SALU_CYCLE_1)
	s_and_b32 exec_lo, exec_lo, s1
	s_cbranch_execz .LBB1_20
.LBB1_19:
	v_mov_b32_e32 v1, 0
	s_lshl_b32 s0, s13, 13
	s_lshl_b32 s1, s14, 9
	v_lshl_add_u32 v0, v0, 11, s0
	ds_load_b32 v2, v1
	v_add3_u32 v1, s1, s8, v4
	s_delay_alu instid0(VALU_DEP_1) | instskip(NEXT) | instid1(VALU_DEP_1)
	v_add3_u32 v0, v0, v1, 0x800
	v_ashrrev_i32_e32 v1, 31, v0
	s_delay_alu instid0(VALU_DEP_1) | instskip(SKIP_2) | instid1(VALU_DEP_2)
	v_lshlrev_b64 v[0:1], 2, v[0:1]
	s_waitcnt lgkmcnt(0)
	v_add_f32_e32 v2, v2, v3
	v_add_co_u32 v0, vcc_lo, s6, v0
	s_delay_alu instid0(VALU_DEP_3) | instskip(NEXT) | instid1(VALU_DEP_3)
	v_add_co_ci_u32_e32 v1, vcc_lo, s7, v1, vcc_lo
	v_max_f32_e32 v2, 0, v2
	global_store_b32 v[0:1], v2, off
.LBB1_20:
	s_nop 0
	s_sendmsg sendmsg(MSG_DEALLOC_VGPRS)
	s_endpgm
.LBB1_21:
	s_mov_b32 s2, exec_lo
                                        ; implicit-def: $sgpr3
                                        ; implicit-def: $vgpr3
	v_cmpx_lt_i32_e32 2, v1
	s_xor_b32 s2, exec_lo, s2
	s_cbranch_execz .LBB1_28
; %bb.22:
	s_mov_b32 s4, 0
	s_mov_b32 s1, exec_lo
                                        ; implicit-def: $sgpr3
                                        ; implicit-def: $vgpr3
	v_cmpx_eq_u32_e32 3, v1
	s_cbranch_execz .LBB1_27
; %bb.23:
	s_cmp_lg_u32 s14, 3
	s_cbranch_scc0 .LBB1_25
; %bb.24:
	v_lshl_add_u32 v5, v2, 2, 8
	s_mov_b32 s4, -1
	s_movk_i32 s3, 0x200
	ds_load_2addr_b32 v[1:2], v5 offset0:1 offset1:2
	ds_load_2addr_b32 v[3:4], v5 offset0:3 offset1:4
	s_waitcnt lgkmcnt(1)
	v_dual_mov_b32 v6, 0 :: v_dual_sub_f32 v1, v1, v2
	ds_load_b32 v5, v5 offset:20
	ds_load_b32 v6, v6 offset:4
	s_waitcnt lgkmcnt(2)
	v_fmamk_f32 v1, v3, 0x41000000, v1
	s_delay_alu instid0(VALU_DEP_1) | instskip(SKIP_1) | instid1(VALU_DEP_1)
	v_fmamk_f32 v1, v4, 0xc1000000, v1
	s_waitcnt lgkmcnt(1)
	v_add_f32_e32 v1, v5, v1
	s_waitcnt lgkmcnt(0)
	s_delay_alu instid0(VALU_DEP_1)
	v_mul_f32_e32 v3, v6, v1
	s_branch .LBB1_26
.LBB1_25:
                                        ; implicit-def: $sgpr3
                                        ; implicit-def: $vgpr3
.LBB1_26:
	s_and_b32 s4, s4, exec_lo
.LBB1_27:
	s_or_b32 exec_lo, exec_lo, s1
	s_delay_alu instid0(SALU_CYCLE_1)
	s_and_b32 s1, s4, exec_lo
                                        ; implicit-def: $vgpr2
.LBB1_28:
	s_or_saveexec_b32 s2, s2
	v_mov_b32_e32 v4, s3
	s_xor_b32 exec_lo, exec_lo, s2
	s_cbranch_execz .LBB1_33
; %bb.29:
	s_cmp_lg_u32 s14, 3
	s_cbranch_scc0 .LBB1_31
; %bb.30:
	v_lshl_add_u32 v3, v2, 2, 8
	v_mov_b32_e32 v5, 0
	s_movk_i32 s4, 0x180
	s_or_b32 s3, s1, exec_lo
	ds_load_2addr_b32 v[1:2], v3 offset0:1 offset1:2
	ds_load_2addr_b32 v[3:4], v3 offset0:3 offset1:4
	ds_load_b32 v5, v5 offset:4
	s_waitcnt lgkmcnt(2)
	v_add_f32_e32 v1, v1, v2
	s_waitcnt lgkmcnt(1)
	s_delay_alu instid0(VALU_DEP_1) | instskip(NEXT) | instid1(VALU_DEP_1)
	v_fmac_f32_e32 v1, 4.0, v3
	v_fmac_f32_e32 v1, 4.0, v4
	s_waitcnt lgkmcnt(0)
	s_delay_alu instid0(VALU_DEP_1)
	v_mul_f32_e32 v3, v5, v1
	s_branch .LBB1_32
.LBB1_31:
	s_mov_b32 s3, s1
                                        ; implicit-def: $sgpr4
                                        ; implicit-def: $vgpr3
.LBB1_32:
	v_mov_b32_e32 v4, s4
	s_and_not1_b32 s1, s1, exec_lo
	s_and_b32 s3, s3, exec_lo
	s_delay_alu instid0(SALU_CYCLE_1)
	s_or_b32 s1, s1, s3
.LBB1_33:
	s_or_b32 exec_lo, exec_lo, s2
	s_delay_alu instid0(SALU_CYCLE_1)
	s_and_b32 s1, s1, exec_lo
                                        ; implicit-def: $vgpr1
                                        ; implicit-def: $vgpr2
	s_and_not1_saveexec_b32 s0, s0
	s_cbranch_execz .LBB1_18
.LBB1_34:
	v_cmp_lt_i32_e32 vcc_lo, 0, v1
	v_lshl_add_u32 v1, v2, 2, 8
                                        ; implicit-def: $sgpr3
                                        ; implicit-def: $vgpr3
	s_and_saveexec_b32 s2, vcc_lo
	s_delay_alu instid0(SALU_CYCLE_1)
	s_xor_b32 s2, exec_lo, s2
	s_cbranch_execz .LBB1_36
; %bb.35:
	ds_load_2addr_b32 v[2:3], v1 offset0:1 offset1:2
	ds_load_2addr_b32 v[4:5], v1 offset0:3 offset1:4
	v_mov_b32_e32 v1, 0
	s_movk_i32 s3, 0x100
	s_waitcnt lgkmcnt(1)
	v_sub_f32_e32 v2, v2, v3
	ds_load_b32 v1, v1 offset:4
	s_waitcnt lgkmcnt(1)
	v_fmac_f32_e32 v2, 2.0, v4
	s_delay_alu instid0(VALU_DEP_1) | instskip(SKIP_1) | instid1(VALU_DEP_1)
	v_fmac_f32_e32 v2, -2.0, v5
	s_waitcnt lgkmcnt(0)
	v_mul_f32_e32 v3, v1, v2
                                        ; implicit-def: $vgpr1
.LBB1_36:
	s_or_saveexec_b32 s2, s2
	v_mov_b32_e32 v4, s3
	s_xor_b32 exec_lo, exec_lo, s2
	s_cbranch_execz .LBB1_38
; %bb.37:
	ds_load_2addr_b32 v[2:3], v1 offset1:1
	ds_load_2addr_b32 v[4:5], v1 offset0:2 offset1:3
	s_waitcnt lgkmcnt(1)
	v_add_f32_e32 v2, v2, v3
	s_waitcnt lgkmcnt(0)
	s_delay_alu instid0(VALU_DEP_1) | instskip(SKIP_1) | instid1(VALU_DEP_2)
	v_add_f32_e32 v2, v2, v4
	v_mov_b32_e32 v4, 0x80
	v_add_f32_e32 v2, v2, v5
	v_mov_b32_e32 v6, 0
	ds_load_b32 v1, v1 offset:16
	ds_load_b32 v6, v6 offset:4
	s_waitcnt lgkmcnt(1)
	v_add_f32_e32 v1, v2, v1
	s_waitcnt lgkmcnt(0)
	s_delay_alu instid0(VALU_DEP_1)
	v_mul_f32_e32 v3, v6, v1
.LBB1_38:
	s_or_b32 exec_lo, exec_lo, s2
	s_delay_alu instid0(SALU_CYCLE_1) | instskip(SKIP_1) | instid1(SALU_CYCLE_1)
	s_or_b32 s1, s1, exec_lo
	s_or_b32 exec_lo, exec_lo, s0
	s_and_b32 exec_lo, exec_lo, s1
	s_cbranch_execnz .LBB1_19
	s_branch .LBB1_20
	.section	.rodata,"a",@progbits
	.p2align	6, 0x0
	.amdhsa_kernel _Z24kernel_128_winograd_AtIAPKfS0_S0_Pf
		.amdhsa_group_segment_fixed_size 8
		.amdhsa_private_segment_fixed_size 0
		.amdhsa_kernarg_size 32
		.amdhsa_user_sgpr_count 13
		.amdhsa_user_sgpr_dispatch_ptr 0
		.amdhsa_user_sgpr_queue_ptr 0
		.amdhsa_user_sgpr_kernarg_segment_ptr 1
		.amdhsa_user_sgpr_dispatch_id 0
		.amdhsa_user_sgpr_private_segment_size 0
		.amdhsa_wavefront_size32 1
		.amdhsa_uses_dynamic_stack 0
		.amdhsa_enable_private_segment 0
		.amdhsa_system_sgpr_workgroup_id_x 1
		.amdhsa_system_sgpr_workgroup_id_y 1
		.amdhsa_system_sgpr_workgroup_id_z 1
		.amdhsa_system_sgpr_workgroup_info 0
		.amdhsa_system_vgpr_workitem_id 1
		.amdhsa_next_free_vgpr 10
		.amdhsa_next_free_sgpr 16
		.amdhsa_reserve_vcc 1
		.amdhsa_float_round_mode_32 0
		.amdhsa_float_round_mode_16_64 0
		.amdhsa_float_denorm_mode_32 3
		.amdhsa_float_denorm_mode_16_64 3
		.amdhsa_dx10_clamp 1
		.amdhsa_ieee_mode 1
		.amdhsa_fp16_overflow 0
		.amdhsa_workgroup_processor_mode 1
		.amdhsa_memory_ordered 1
		.amdhsa_forward_progress 0
		.amdhsa_shared_vgpr_count 0
		.amdhsa_exception_fp_ieee_invalid_op 0
		.amdhsa_exception_fp_denorm_src 0
		.amdhsa_exception_fp_ieee_div_zero 0
		.amdhsa_exception_fp_ieee_overflow 0
		.amdhsa_exception_fp_ieee_underflow 0
		.amdhsa_exception_fp_ieee_inexact 0
		.amdhsa_exception_int_div_zero 0
	.end_amdhsa_kernel
	.text
.Lfunc_end1:
	.size	_Z24kernel_128_winograd_AtIAPKfS0_S0_Pf, .Lfunc_end1-_Z24kernel_128_winograd_AtIAPKfS0_S0_Pf
                                        ; -- End function
	.section	.AMDGPU.csdata,"",@progbits
; Kernel info:
; codeLenInByte = 1332
; NumSgprs: 18
; NumVgprs: 10
; ScratchSize: 0
; MemoryBound: 0
; FloatMode: 240
; IeeeMode: 1
; LDSByteSize: 8 bytes/workgroup (compile time only)
; SGPRBlocks: 2
; VGPRBlocks: 1
; NumSGPRsForWavesPerEU: 18
; NumVGPRsForWavesPerEU: 10
; Occupancy: 16
; WaveLimiterHint : 0
; COMPUTE_PGM_RSRC2:SCRATCH_EN: 0
; COMPUTE_PGM_RSRC2:USER_SGPR: 13
; COMPUTE_PGM_RSRC2:TRAP_HANDLER: 0
; COMPUTE_PGM_RSRC2:TGID_X_EN: 1
; COMPUTE_PGM_RSRC2:TGID_Y_EN: 1
; COMPUTE_PGM_RSRC2:TGID_Z_EN: 1
; COMPUTE_PGM_RSRC2:TIDIG_COMP_CNT: 1
	.text
	.protected	_Z27kernel_128_OuterProduct_128PKfS0_Pf ; -- Begin function _Z27kernel_128_OuterProduct_128PKfS0_Pf
	.globl	_Z27kernel_128_OuterProduct_128PKfS0_Pf
	.p2align	8
	.type	_Z27kernel_128_OuterProduct_128PKfS0_Pf,@function
_Z27kernel_128_OuterProduct_128PKfS0_Pf: ; @_Z27kernel_128_OuterProduct_128PKfS0_Pf
; %bb.0:
	v_and_b32_e32 v10, 0x3ff, v0
	v_bfe_u32 v11, v0, 10, 10
	s_load_b128 s[4:7], s[0:1], 0x0
	s_lshl_b32 s2, s14, 11
	s_lshl_b32 s3, s15, 10
	s_load_b64 s[0:1], s[0:1], 0x10
	v_lshl_add_u32 v12, v11, 7, v10
	s_delay_alu instid0(VALU_DEP_1) | instskip(SKIP_1) | instid1(VALU_DEP_2)
	v_lshl_add_u32 v0, s14, 14, v12
	v_add3_u32 v2, s2, s3, v12
	v_ashrrev_i32_e32 v1, 31, v0
	s_delay_alu instid0(VALU_DEP_2) | instskip(NEXT) | instid1(VALU_DEP_2)
	v_ashrrev_i32_e32 v3, 31, v2
	v_lshlrev_b64 v[4:5], 2, v[0:1]
	s_delay_alu instid0(VALU_DEP_2) | instskip(SKIP_1) | instid1(VALU_DEP_2)
	v_lshlrev_b64 v[0:1], 2, v[2:3]
	s_waitcnt lgkmcnt(0)
	v_add_co_u32 v2, vcc_lo, s6, v4
	s_delay_alu instid0(VALU_DEP_3) | instskip(NEXT) | instid1(VALU_DEP_3)
	v_add_co_ci_u32_e32 v3, vcc_lo, s7, v5, vcc_lo
	v_add_co_u32 v4, vcc_lo, s4, v0
	s_delay_alu instid0(VALU_DEP_4) | instskip(NEXT) | instid1(VALU_DEP_4)
	v_add_co_ci_u32_e32 v5, vcc_lo, s5, v1, vcc_lo
	v_add_co_u32 v6, vcc_lo, v2, 0x2000
	s_delay_alu instid0(VALU_DEP_4)
	v_add_co_ci_u32_e32 v7, vcc_lo, 0, v3, vcc_lo
	v_add_co_u32 v8, vcc_lo, v2, 0x4000
	v_add_co_ci_u32_e32 v9, vcc_lo, 0, v3, vcc_lo
	global_load_b32 v13, v[4:5], off
	s_clause 0x3
	global_load_b32 v14, v[2:3], off
	global_load_b32 v15, v[6:7], off offset:-4096
	global_load_b32 v7, v[6:7], off
	global_load_b32 v16, v[8:9], off offset:-4096
	v_lshl_add_u32 v4, v12, 2, 0
	v_lshl_add_u32 v5, v10, 2, 0
	;; [unrolled: 1-line block ×3, first 2 shown]
	v_mov_b32_e32 v12, 0
	s_waitcnt vmcnt(3)
	ds_store_2addr_stride64_b32 v4, v13, v14 offset1:16
	s_waitcnt vmcnt(1)
	ds_store_2addr_stride64_b32 v4, v15, v7 offset0:32 offset1:48
	s_waitcnt vmcnt(0)
	ds_store_2addr_stride64_b32 v4, v16, v12 offset0:64 offset1:144
	s_waitcnt lgkmcnt(0)
	s_barrier
	buffer_gl0_inv
	ds_load_2addr_stride64_b32 v[10:11], v5 offset0:16 offset1:18
	ds_load_2addr_b32 v[12:13], v6 offset1:1
	ds_load_2addr_stride64_b32 v[14:15], v5 offset0:20 offset1:22
	ds_load_2addr_b32 v[16:17], v6 offset0:2 offset1:3
	ds_load_2addr_b32 v[18:19], v6 offset0:4 offset1:5
	ds_load_2addr_stride64_b32 v[20:21], v5 offset0:24 offset1:26
	ds_load_b32 v7, v4 offset:36864
	s_waitcnt lgkmcnt(5)
	v_fma_f32 v24, v12, v10, 0
	s_delay_alu instid0(VALU_DEP_1) | instskip(SKIP_4) | instid1(VALU_DEP_1)
	v_fmac_f32_e32 v24, v13, v11
	ds_load_2addr_stride64_b32 v[10:11], v5 offset0:28 offset1:30
	ds_load_2addr_b32 v[12:13], v6 offset0:6 offset1:7
	s_waitcnt lgkmcnt(5)
	v_fmac_f32_e32 v24, v16, v14
	v_fmac_f32_e32 v24, v17, v15
	ds_load_2addr_b32 v[16:17], v6 offset0:8 offset1:9
	ds_load_2addr_stride64_b32 v[14:15], v5 offset0:32 offset1:34
	s_waitcnt lgkmcnt(5)
	v_fmac_f32_e32 v24, v18, v20
	s_delay_alu instid0(VALU_DEP_1)
	v_fmac_f32_e32 v24, v19, v21
	ds_load_2addr_stride64_b32 v[18:19], v5 offset0:36 offset1:38
	ds_load_2addr_b32 v[20:21], v6 offset0:10 offset1:11
	ds_load_2addr_b32 v[22:23], v6 offset0:12 offset1:13
	s_waitcnt lgkmcnt(5)
	v_fmac_f32_e32 v24, v12, v10
	s_delay_alu instid0(VALU_DEP_1) | instskip(SKIP_4) | instid1(VALU_DEP_1)
	v_fmac_f32_e32 v24, v13, v11
	ds_load_2addr_stride64_b32 v[10:11], v5 offset0:40 offset1:42
	ds_load_2addr_stride64_b32 v[12:13], v5 offset0:44 offset1:46
	s_waitcnt lgkmcnt(5)
	v_fmac_f32_e32 v24, v16, v14
	v_fmac_f32_e32 v24, v17, v15
	ds_load_2addr_b32 v[14:15], v6 offset0:14 offset1:15
	ds_load_2addr_stride64_b32 v[16:17], v5 offset0:48 offset1:50
	s_waitcnt lgkmcnt(5)
	v_fmac_f32_e32 v24, v20, v18
	s_delay_alu instid0(VALU_DEP_1) | instskip(SKIP_3) | instid1(VALU_DEP_1)
	v_fmac_f32_e32 v24, v21, v19
	ds_load_2addr_b32 v[18:19], v6 offset0:16 offset1:17
	s_waitcnt lgkmcnt(4)
	v_fmac_f32_e32 v24, v22, v10
	v_fmac_f32_e32 v24, v23, v11
	ds_load_2addr_stride64_b32 v[10:11], v5 offset0:52 offset1:54
	ds_load_2addr_b32 v[20:21], v6 offset0:18 offset1:19
	ds_load_2addr_b32 v[22:23], v6 offset0:20 offset1:21
	s_waitcnt lgkmcnt(5)
	v_fmac_f32_e32 v24, v14, v12
	s_delay_alu instid0(VALU_DEP_1) | instskip(SKIP_4) | instid1(VALU_DEP_1)
	v_fmac_f32_e32 v24, v15, v13
	ds_load_2addr_stride64_b32 v[12:13], v5 offset0:56 offset1:58
	ds_load_2addr_stride64_b32 v[14:15], v5 offset0:60 offset1:62
	s_waitcnt lgkmcnt(5)
	v_fmac_f32_e32 v24, v18, v16
	v_fmac_f32_e32 v24, v19, v17
	ds_load_2addr_b32 v[16:17], v6 offset0:22 offset1:23
	ds_load_2addr_b32 v[18:19], v6 offset0:24 offset1:25
	s_waitcnt lgkmcnt(5)
	v_fmac_f32_e32 v24, v20, v10
	s_delay_alu instid0(VALU_DEP_1) | instskip(SKIP_3) | instid1(VALU_DEP_1)
	v_fmac_f32_e32 v24, v21, v11
	ds_load_2addr_stride64_b32 v[10:11], v5 offset0:64 offset1:66
	s_waitcnt lgkmcnt(4)
	v_fmac_f32_e32 v24, v22, v12
	v_fmac_f32_e32 v24, v23, v13
	ds_load_2addr_stride64_b32 v[12:13], v5 offset0:68 offset1:70
	ds_load_2addr_b32 v[20:21], v6 offset0:26 offset1:27
	ds_load_2addr_b32 v[22:23], v6 offset0:28 offset1:29
	s_waitcnt lgkmcnt(5)
	v_fmac_f32_e32 v24, v16, v14
	s_delay_alu instid0(VALU_DEP_1) | instskip(SKIP_3) | instid1(VALU_DEP_1)
	v_fmac_f32_e32 v24, v17, v15
	ds_load_2addr_stride64_b32 v[14:15], v5 offset0:72 offset1:74
	s_waitcnt lgkmcnt(4)
	v_fmac_f32_e32 v24, v18, v10
	v_fmac_f32_e32 v24, v19, v11
	ds_load_2addr_b32 v[10:11], v6 offset0:30 offset1:31
	ds_load_2addr_stride64_b32 v[16:17], v5 offset0:76 offset1:78
	s_waitcnt lgkmcnt(4)
	v_fmac_f32_e32 v24, v20, v12
	s_delay_alu instid0(VALU_DEP_1) | instskip(SKIP_1) | instid1(VALU_DEP_1)
	v_fmac_f32_e32 v24, v21, v13
	s_waitcnt lgkmcnt(2)
	v_fmac_f32_e32 v24, v22, v14
	s_delay_alu instid0(VALU_DEP_1) | instskip(SKIP_1) | instid1(VALU_DEP_1)
	v_fmac_f32_e32 v24, v23, v15
	s_waitcnt lgkmcnt(0)
	v_fmac_f32_e32 v24, v10, v16
	v_add_co_u32 v10, vcc_lo, v2, 0x6000
	s_delay_alu instid0(VALU_DEP_2) | instskip(SKIP_2) | instid1(VALU_DEP_3)
	v_fmac_f32_e32 v24, v11, v17
	v_add_co_ci_u32_e32 v11, vcc_lo, 0, v3, vcc_lo
	v_add_co_u32 v12, vcc_lo, v2, 0x8000
	v_add_f32_e32 v7, v24, v7
	v_add_co_ci_u32_e32 v13, vcc_lo, 0, v3, vcc_lo
	ds_store_b32 v4, v7 offset:36864
	s_waitcnt lgkmcnt(0)
	s_barrier
	buffer_gl0_inv
	s_clause 0x3
	global_load_b32 v7, v[8:9], off
	global_load_b32 v8, v[10:11], off offset:-4096
	global_load_b32 v9, v[10:11], off
	global_load_b32 v10, v[12:13], off offset:-4096
	s_waitcnt vmcnt(2)
	ds_store_2addr_stride64_b32 v4, v7, v8 offset0:16 offset1:32
	s_waitcnt vmcnt(0)
	ds_store_2addr_stride64_b32 v4, v9, v10 offset0:48 offset1:64
	s_waitcnt lgkmcnt(0)
	s_barrier
	buffer_gl0_inv
	ds_load_2addr_stride64_b32 v[7:8], v5 offset0:16 offset1:18
	ds_load_2addr_b32 v[9:10], v6 offset0:32 offset1:33
	ds_load_2addr_stride64_b32 v[14:15], v5 offset0:20 offset1:22
	ds_load_2addr_b32 v[16:17], v6 offset0:34 offset1:35
	ds_load_2addr_b32 v[18:19], v6 offset0:36 offset1:37
	ds_load_2addr_stride64_b32 v[20:21], v5 offset0:24 offset1:26
	ds_load_b32 v11, v4 offset:36864
	s_waitcnt lgkmcnt(5)
	v_fma_f32 v24, v9, v7, 0
	s_delay_alu instid0(VALU_DEP_1) | instskip(SKIP_4) | instid1(VALU_DEP_1)
	v_fmac_f32_e32 v24, v10, v8
	ds_load_2addr_stride64_b32 v[7:8], v5 offset0:28 offset1:30
	ds_load_2addr_b32 v[9:10], v6 offset0:38 offset1:39
	s_waitcnt lgkmcnt(5)
	v_fmac_f32_e32 v24, v16, v14
	v_fmac_f32_e32 v24, v17, v15
	ds_load_2addr_b32 v[16:17], v6 offset0:40 offset1:41
	ds_load_2addr_stride64_b32 v[14:15], v5 offset0:32 offset1:34
	s_waitcnt lgkmcnt(5)
	v_fmac_f32_e32 v24, v18, v20
	s_delay_alu instid0(VALU_DEP_1)
	v_fmac_f32_e32 v24, v19, v21
	ds_load_2addr_stride64_b32 v[18:19], v5 offset0:36 offset1:38
	ds_load_2addr_b32 v[20:21], v6 offset0:42 offset1:43
	ds_load_2addr_b32 v[22:23], v6 offset0:44 offset1:45
	s_waitcnt lgkmcnt(5)
	v_fmac_f32_e32 v24, v9, v7
	s_delay_alu instid0(VALU_DEP_1) | instskip(SKIP_4) | instid1(VALU_DEP_1)
	v_fmac_f32_e32 v24, v10, v8
	ds_load_2addr_stride64_b32 v[7:8], v5 offset0:40 offset1:42
	ds_load_2addr_stride64_b32 v[9:10], v5 offset0:44 offset1:46
	s_waitcnt lgkmcnt(5)
	v_fmac_f32_e32 v24, v16, v14
	v_fmac_f32_e32 v24, v17, v15
	ds_load_2addr_b32 v[14:15], v6 offset0:46 offset1:47
	ds_load_2addr_stride64_b32 v[16:17], v5 offset0:48 offset1:50
	s_waitcnt lgkmcnt(5)
	v_fmac_f32_e32 v24, v20, v18
	s_delay_alu instid0(VALU_DEP_1) | instskip(SKIP_3) | instid1(VALU_DEP_1)
	v_fmac_f32_e32 v24, v21, v19
	ds_load_2addr_b32 v[18:19], v6 offset0:48 offset1:49
	s_waitcnt lgkmcnt(4)
	v_fmac_f32_e32 v24, v22, v7
	v_fmac_f32_e32 v24, v23, v8
	ds_load_2addr_stride64_b32 v[7:8], v5 offset0:52 offset1:54
	ds_load_2addr_b32 v[20:21], v6 offset0:50 offset1:51
	ds_load_2addr_b32 v[22:23], v6 offset0:52 offset1:53
	s_waitcnt lgkmcnt(5)
	v_fmac_f32_e32 v24, v14, v9
	s_delay_alu instid0(VALU_DEP_1) | instskip(SKIP_4) | instid1(VALU_DEP_1)
	v_fmac_f32_e32 v24, v15, v10
	ds_load_2addr_stride64_b32 v[9:10], v5 offset0:56 offset1:58
	ds_load_2addr_stride64_b32 v[14:15], v5 offset0:60 offset1:62
	s_waitcnt lgkmcnt(5)
	v_fmac_f32_e32 v24, v18, v16
	v_fmac_f32_e32 v24, v19, v17
	ds_load_2addr_b32 v[16:17], v6 offset0:54 offset1:55
	ds_load_2addr_b32 v[18:19], v6 offset0:56 offset1:57
	s_waitcnt lgkmcnt(5)
	v_fmac_f32_e32 v24, v20, v7
	s_delay_alu instid0(VALU_DEP_1) | instskip(SKIP_3) | instid1(VALU_DEP_1)
	v_fmac_f32_e32 v24, v21, v8
	ds_load_2addr_stride64_b32 v[7:8], v5 offset0:64 offset1:66
	s_waitcnt lgkmcnt(4)
	v_fmac_f32_e32 v24, v22, v9
	v_fmac_f32_e32 v24, v23, v10
	ds_load_2addr_stride64_b32 v[9:10], v5 offset0:68 offset1:70
	ds_load_2addr_b32 v[20:21], v6 offset0:58 offset1:59
	ds_load_2addr_b32 v[22:23], v6 offset0:60 offset1:61
	s_waitcnt lgkmcnt(5)
	v_fmac_f32_e32 v24, v16, v14
	s_delay_alu instid0(VALU_DEP_1) | instskip(SKIP_3) | instid1(VALU_DEP_1)
	v_fmac_f32_e32 v24, v17, v15
	ds_load_2addr_stride64_b32 v[14:15], v5 offset0:72 offset1:74
	s_waitcnt lgkmcnt(4)
	v_fmac_f32_e32 v24, v18, v7
	v_fmac_f32_e32 v24, v19, v8
	ds_load_2addr_b32 v[7:8], v6 offset0:62 offset1:63
	ds_load_2addr_stride64_b32 v[16:17], v5 offset0:76 offset1:78
	s_waitcnt lgkmcnt(4)
	v_fmac_f32_e32 v24, v20, v9
	s_delay_alu instid0(VALU_DEP_1) | instskip(SKIP_1) | instid1(VALU_DEP_1)
	v_fmac_f32_e32 v24, v21, v10
	s_waitcnt lgkmcnt(2)
	v_fmac_f32_e32 v24, v22, v14
	s_delay_alu instid0(VALU_DEP_1) | instskip(SKIP_1) | instid1(VALU_DEP_1)
	v_fmac_f32_e32 v24, v23, v15
	s_waitcnt lgkmcnt(0)
	v_fmac_f32_e32 v24, v7, v16
	v_add_co_u32 v7, vcc_lo, v2, 0xa000
	s_delay_alu instid0(VALU_DEP_2) | instskip(SKIP_2) | instid1(VALU_DEP_3)
	v_fmac_f32_e32 v24, v8, v17
	v_add_co_ci_u32_e32 v8, vcc_lo, 0, v3, vcc_lo
	v_add_co_u32 v9, vcc_lo, v2, 0xc000
	v_add_f32_e32 v11, v24, v11
	v_add_co_ci_u32_e32 v10, vcc_lo, 0, v3, vcc_lo
	ds_store_b32 v4, v11 offset:36864
	s_waitcnt lgkmcnt(0)
	s_barrier
	buffer_gl0_inv
	s_clause 0x3
	global_load_b32 v11, v[12:13], off
	global_load_b32 v12, v[7:8], off offset:-4096
	global_load_b32 v7, v[7:8], off
	global_load_b32 v8, v[9:10], off offset:-4096
	s_waitcnt vmcnt(2)
	ds_store_2addr_stride64_b32 v4, v11, v12 offset0:16 offset1:32
	s_waitcnt vmcnt(0)
	ds_store_2addr_stride64_b32 v4, v7, v8 offset0:48 offset1:64
	s_waitcnt lgkmcnt(0)
	s_barrier
	buffer_gl0_inv
	ds_load_2addr_stride64_b32 v[7:8], v5 offset0:16 offset1:18
	ds_load_2addr_b32 v[11:12], v6 offset0:64 offset1:65
	ds_load_2addr_stride64_b32 v[13:14], v5 offset0:20 offset1:22
	ds_load_2addr_b32 v[15:16], v6 offset0:66 offset1:67
	ds_load_2addr_b32 v[17:18], v6 offset0:68 offset1:69
	ds_load_2addr_stride64_b32 v[19:20], v5 offset0:24 offset1:26
	ds_load_b32 v23, v4 offset:36864
	s_waitcnt lgkmcnt(5)
	v_fma_f32 v24, v11, v7, 0
	s_delay_alu instid0(VALU_DEP_1) | instskip(SKIP_4) | instid1(VALU_DEP_1)
	v_fmac_f32_e32 v24, v12, v8
	ds_load_2addr_stride64_b32 v[7:8], v5 offset0:28 offset1:30
	ds_load_2addr_b32 v[11:12], v6 offset0:70 offset1:71
	s_waitcnt lgkmcnt(5)
	v_fmac_f32_e32 v24, v15, v13
	v_fmac_f32_e32 v24, v16, v14
	ds_load_2addr_b32 v[15:16], v6 offset0:72 offset1:73
	ds_load_2addr_stride64_b32 v[13:14], v5 offset0:32 offset1:34
	s_waitcnt lgkmcnt(5)
	v_fmac_f32_e32 v24, v17, v19
	s_delay_alu instid0(VALU_DEP_1)
	v_fmac_f32_e32 v24, v18, v20
	ds_load_2addr_stride64_b32 v[17:18], v5 offset0:36 offset1:38
	ds_load_2addr_b32 v[19:20], v6 offset0:74 offset1:75
	ds_load_2addr_b32 v[21:22], v6 offset0:76 offset1:77
	s_waitcnt lgkmcnt(5)
	v_fmac_f32_e32 v24, v11, v7
	s_delay_alu instid0(VALU_DEP_1) | instskip(SKIP_4) | instid1(VALU_DEP_1)
	v_fmac_f32_e32 v24, v12, v8
	ds_load_2addr_stride64_b32 v[7:8], v5 offset0:40 offset1:42
	ds_load_2addr_stride64_b32 v[11:12], v5 offset0:44 offset1:46
	s_waitcnt lgkmcnt(5)
	v_fmac_f32_e32 v24, v15, v13
	v_fmac_f32_e32 v24, v16, v14
	ds_load_2addr_b32 v[13:14], v6 offset0:78 offset1:79
	ds_load_2addr_stride64_b32 v[15:16], v5 offset0:48 offset1:50
	s_waitcnt lgkmcnt(5)
	v_fmac_f32_e32 v24, v19, v17
	s_delay_alu instid0(VALU_DEP_1) | instskip(SKIP_3) | instid1(VALU_DEP_1)
	v_fmac_f32_e32 v24, v20, v18
	ds_load_2addr_b32 v[17:18], v6 offset0:80 offset1:81
	s_waitcnt lgkmcnt(4)
	v_fmac_f32_e32 v24, v21, v7
	v_fmac_f32_e32 v24, v22, v8
	ds_load_2addr_stride64_b32 v[7:8], v5 offset0:52 offset1:54
	ds_load_2addr_b32 v[19:20], v6 offset0:82 offset1:83
	ds_load_2addr_b32 v[21:22], v6 offset0:84 offset1:85
	s_waitcnt lgkmcnt(5)
	v_fmac_f32_e32 v24, v13, v11
	s_delay_alu instid0(VALU_DEP_1) | instskip(SKIP_4) | instid1(VALU_DEP_1)
	v_fmac_f32_e32 v24, v14, v12
	ds_load_2addr_stride64_b32 v[11:12], v5 offset0:56 offset1:58
	ds_load_2addr_stride64_b32 v[13:14], v5 offset0:60 offset1:62
	s_waitcnt lgkmcnt(5)
	v_fmac_f32_e32 v24, v17, v15
	v_fmac_f32_e32 v24, v18, v16
	ds_load_2addr_b32 v[15:16], v6 offset0:86 offset1:87
	ds_load_2addr_b32 v[17:18], v6 offset0:88 offset1:89
	s_waitcnt lgkmcnt(5)
	v_fmac_f32_e32 v24, v19, v7
	s_delay_alu instid0(VALU_DEP_1) | instskip(SKIP_3) | instid1(VALU_DEP_1)
	v_fmac_f32_e32 v24, v20, v8
	ds_load_2addr_stride64_b32 v[7:8], v5 offset0:64 offset1:66
	s_waitcnt lgkmcnt(4)
	v_fmac_f32_e32 v24, v21, v11
	v_fmac_f32_e32 v24, v22, v12
	ds_load_2addr_stride64_b32 v[11:12], v5 offset0:68 offset1:70
	ds_load_2addr_b32 v[19:20], v6 offset0:90 offset1:91
	ds_load_2addr_b32 v[21:22], v6 offset0:92 offset1:93
	s_waitcnt lgkmcnt(5)
	v_fmac_f32_e32 v24, v15, v13
	s_delay_alu instid0(VALU_DEP_1) | instskip(SKIP_3) | instid1(VALU_DEP_1)
	v_fmac_f32_e32 v24, v16, v14
	ds_load_2addr_stride64_b32 v[13:14], v5 offset0:72 offset1:74
	s_waitcnt lgkmcnt(4)
	v_fmac_f32_e32 v24, v17, v7
	v_fmac_f32_e32 v24, v18, v8
	ds_load_2addr_b32 v[7:8], v6 offset0:94 offset1:95
	ds_load_2addr_stride64_b32 v[15:16], v5 offset0:76 offset1:78
	s_waitcnt lgkmcnt(4)
	v_fmac_f32_e32 v24, v19, v11
	s_delay_alu instid0(VALU_DEP_1) | instskip(SKIP_1) | instid1(VALU_DEP_1)
	v_fmac_f32_e32 v24, v20, v12
	s_waitcnt lgkmcnt(2)
	v_fmac_f32_e32 v24, v21, v13
	s_delay_alu instid0(VALU_DEP_1) | instskip(SKIP_1) | instid1(VALU_DEP_1)
	v_fmac_f32_e32 v24, v22, v14
	s_waitcnt lgkmcnt(0)
	v_fmac_f32_e32 v24, v7, v15
	v_add_co_u32 v7, vcc_lo, v2, 0xe000
	s_delay_alu instid0(VALU_DEP_2) | instskip(SKIP_2) | instid1(VALU_DEP_3)
	v_fmac_f32_e32 v24, v8, v16
	v_add_co_ci_u32_e32 v8, vcc_lo, 0, v3, vcc_lo
	v_add_co_u32 v2, vcc_lo, 0xf000, v2
	v_add_f32_e32 v11, v24, v23
	v_add_co_ci_u32_e32 v3, vcc_lo, 0, v3, vcc_lo
	v_add_co_u32 v0, vcc_lo, s0, v0
	ds_store_b32 v4, v11 offset:36864
	s_waitcnt lgkmcnt(0)
	s_barrier
	buffer_gl0_inv
	s_clause 0x3
	global_load_b32 v11, v[7:8], off offset:-4096
	global_load_b32 v7, v[7:8], off
	global_load_b32 v8, v[9:10], off
	;; [unrolled: 1-line block ×3, first 2 shown]
	v_add_co_ci_u32_e32 v1, vcc_lo, s1, v1, vcc_lo
	s_waitcnt vmcnt(1)
	ds_store_2addr_stride64_b32 v4, v8, v11 offset0:16 offset1:32
	s_waitcnt vmcnt(0)
	ds_store_2addr_stride64_b32 v4, v7, v2 offset0:48 offset1:64
	s_waitcnt lgkmcnt(0)
	s_barrier
	buffer_gl0_inv
	ds_load_2addr_stride64_b32 v[2:3], v5 offset0:16 offset1:18
	ds_load_2addr_b32 v[7:8], v6 offset0:96 offset1:97
	ds_load_2addr_stride64_b32 v[9:10], v5 offset0:20 offset1:22
	ds_load_2addr_b32 v[11:12], v6 offset0:98 offset1:99
	ds_load_2addr_b32 v[13:14], v6 offset0:100 offset1:101
	ds_load_2addr_stride64_b32 v[15:16], v5 offset0:24 offset1:26
	ds_load_b32 v19, v4 offset:36864
	s_waitcnt lgkmcnt(5)
	v_fma_f32 v20, v7, v2, 0
	s_delay_alu instid0(VALU_DEP_1) | instskip(SKIP_4) | instid1(VALU_DEP_1)
	v_fmac_f32_e32 v20, v8, v3
	ds_load_2addr_stride64_b32 v[2:3], v5 offset0:28 offset1:30
	ds_load_2addr_b32 v[7:8], v6 offset0:102 offset1:103
	s_waitcnt lgkmcnt(5)
	v_fmac_f32_e32 v20, v11, v9
	v_fmac_f32_e32 v20, v12, v10
	ds_load_2addr_b32 v[11:12], v6 offset0:104 offset1:105
	ds_load_2addr_stride64_b32 v[9:10], v5 offset0:32 offset1:34
	s_waitcnt lgkmcnt(5)
	v_fmac_f32_e32 v20, v13, v15
	s_delay_alu instid0(VALU_DEP_1)
	v_fmac_f32_e32 v20, v14, v16
	ds_load_2addr_stride64_b32 v[13:14], v5 offset0:36 offset1:38
	ds_load_2addr_b32 v[15:16], v6 offset0:106 offset1:107
	ds_load_2addr_b32 v[17:18], v6 offset0:108 offset1:109
	s_waitcnt lgkmcnt(5)
	v_fmac_f32_e32 v20, v7, v2
	s_delay_alu instid0(VALU_DEP_1) | instskip(SKIP_4) | instid1(VALU_DEP_1)
	v_fmac_f32_e32 v20, v8, v3
	ds_load_2addr_stride64_b32 v[2:3], v5 offset0:40 offset1:42
	ds_load_2addr_stride64_b32 v[7:8], v5 offset0:44 offset1:46
	s_waitcnt lgkmcnt(5)
	v_fmac_f32_e32 v20, v11, v9
	v_fmac_f32_e32 v20, v12, v10
	ds_load_2addr_b32 v[9:10], v6 offset0:110 offset1:111
	ds_load_2addr_stride64_b32 v[11:12], v5 offset0:48 offset1:50
	s_waitcnt lgkmcnt(5)
	v_fmac_f32_e32 v20, v15, v13
	s_delay_alu instid0(VALU_DEP_1) | instskip(SKIP_3) | instid1(VALU_DEP_1)
	v_fmac_f32_e32 v20, v16, v14
	ds_load_2addr_b32 v[13:14], v6 offset0:112 offset1:113
	s_waitcnt lgkmcnt(4)
	v_fmac_f32_e32 v20, v17, v2
	v_fmac_f32_e32 v20, v18, v3
	ds_load_2addr_stride64_b32 v[2:3], v5 offset0:52 offset1:54
	ds_load_2addr_b32 v[15:16], v6 offset0:114 offset1:115
	ds_load_2addr_b32 v[17:18], v6 offset0:116 offset1:117
	s_waitcnt lgkmcnt(5)
	v_fmac_f32_e32 v20, v9, v7
	s_delay_alu instid0(VALU_DEP_1) | instskip(SKIP_4) | instid1(VALU_DEP_1)
	v_fmac_f32_e32 v20, v10, v8
	ds_load_2addr_stride64_b32 v[7:8], v5 offset0:56 offset1:58
	ds_load_2addr_stride64_b32 v[9:10], v5 offset0:60 offset1:62
	s_waitcnt lgkmcnt(5)
	v_fmac_f32_e32 v20, v13, v11
	v_fmac_f32_e32 v20, v14, v12
	ds_load_2addr_b32 v[11:12], v6 offset0:118 offset1:119
	ds_load_2addr_b32 v[13:14], v6 offset0:120 offset1:121
	s_waitcnt lgkmcnt(5)
	v_fmac_f32_e32 v20, v15, v2
	s_delay_alu instid0(VALU_DEP_1) | instskip(SKIP_3) | instid1(VALU_DEP_1)
	v_fmac_f32_e32 v20, v16, v3
	ds_load_2addr_stride64_b32 v[2:3], v5 offset0:64 offset1:66
	s_waitcnt lgkmcnt(4)
	v_fmac_f32_e32 v20, v17, v7
	v_fmac_f32_e32 v20, v18, v8
	ds_load_2addr_stride64_b32 v[7:8], v5 offset0:68 offset1:70
	ds_load_2addr_b32 v[15:16], v6 offset0:122 offset1:123
	ds_load_2addr_b32 v[17:18], v6 offset0:124 offset1:125
	s_waitcnt lgkmcnt(5)
	v_fmac_f32_e32 v20, v11, v9
	s_delay_alu instid0(VALU_DEP_1) | instskip(SKIP_3) | instid1(VALU_DEP_1)
	v_fmac_f32_e32 v20, v12, v10
	ds_load_2addr_stride64_b32 v[9:10], v5 offset0:72 offset1:74
	s_waitcnt lgkmcnt(4)
	v_fmac_f32_e32 v20, v13, v2
	v_fmac_f32_e32 v20, v14, v3
	ds_load_2addr_b32 v[2:3], v6 offset0:126 offset1:127
	ds_load_2addr_stride64_b32 v[5:6], v5 offset0:76 offset1:78
	s_waitcnt lgkmcnt(4)
	v_fmac_f32_e32 v20, v15, v7
	s_delay_alu instid0(VALU_DEP_1) | instskip(SKIP_1) | instid1(VALU_DEP_1)
	v_fmac_f32_e32 v20, v16, v8
	s_waitcnt lgkmcnt(2)
	v_fmac_f32_e32 v20, v17, v9
	s_delay_alu instid0(VALU_DEP_1) | instskip(SKIP_1) | instid1(VALU_DEP_1)
	v_fmac_f32_e32 v20, v18, v10
	s_waitcnt lgkmcnt(0)
	v_fmac_f32_e32 v20, v2, v5
	s_delay_alu instid0(VALU_DEP_1) | instskip(NEXT) | instid1(VALU_DEP_1)
	v_fmac_f32_e32 v20, v3, v6
	v_add_f32_e32 v2, v20, v19
	ds_store_b32 v4, v2 offset:36864
	s_waitcnt lgkmcnt(0)
	s_barrier
	buffer_gl0_inv
	ds_load_b32 v2, v4 offset:36864
	s_waitcnt lgkmcnt(0)
	global_store_b32 v[0:1], v2, off
	s_nop 0
	s_sendmsg sendmsg(MSG_DEALLOC_VGPRS)
	s_endpgm
	.section	.rodata,"a",@progbits
	.p2align	6, 0x0
	.amdhsa_kernel _Z27kernel_128_OuterProduct_128PKfS0_Pf
		.amdhsa_group_segment_fixed_size 0
		.amdhsa_private_segment_fixed_size 0
		.amdhsa_kernarg_size 24
		.amdhsa_user_sgpr_count 14
		.amdhsa_user_sgpr_dispatch_ptr 0
		.amdhsa_user_sgpr_queue_ptr 0
		.amdhsa_user_sgpr_kernarg_segment_ptr 1
		.amdhsa_user_sgpr_dispatch_id 0
		.amdhsa_user_sgpr_private_segment_size 0
		.amdhsa_wavefront_size32 1
		.amdhsa_uses_dynamic_stack 0
		.amdhsa_enable_private_segment 0
		.amdhsa_system_sgpr_workgroup_id_x 1
		.amdhsa_system_sgpr_workgroup_id_y 1
		.amdhsa_system_sgpr_workgroup_id_z 0
		.amdhsa_system_sgpr_workgroup_info 0
		.amdhsa_system_vgpr_workitem_id 1
		.amdhsa_next_free_vgpr 25
		.amdhsa_next_free_sgpr 16
		.amdhsa_reserve_vcc 1
		.amdhsa_float_round_mode_32 0
		.amdhsa_float_round_mode_16_64 0
		.amdhsa_float_denorm_mode_32 3
		.amdhsa_float_denorm_mode_16_64 3
		.amdhsa_dx10_clamp 1
		.amdhsa_ieee_mode 1
		.amdhsa_fp16_overflow 0
		.amdhsa_workgroup_processor_mode 1
		.amdhsa_memory_ordered 1
		.amdhsa_forward_progress 0
		.amdhsa_shared_vgpr_count 0
		.amdhsa_exception_fp_ieee_invalid_op 0
		.amdhsa_exception_fp_denorm_src 0
		.amdhsa_exception_fp_ieee_div_zero 0
		.amdhsa_exception_fp_ieee_overflow 0
		.amdhsa_exception_fp_ieee_underflow 0
		.amdhsa_exception_fp_ieee_inexact 0
		.amdhsa_exception_int_div_zero 0
	.end_amdhsa_kernel
	.text
.Lfunc_end2:
	.size	_Z27kernel_128_OuterProduct_128PKfS0_Pf, .Lfunc_end2-_Z27kernel_128_OuterProduct_128PKfS0_Pf
                                        ; -- End function
	.section	.AMDGPU.csdata,"",@progbits
; Kernel info:
; codeLenInByte = 2776
; NumSgprs: 18
; NumVgprs: 25
; ScratchSize: 0
; MemoryBound: 0
; FloatMode: 240
; IeeeMode: 1
; LDSByteSize: 0 bytes/workgroup (compile time only)
; SGPRBlocks: 2
; VGPRBlocks: 3
; NumSGPRsForWavesPerEU: 18
; NumVGPRsForWavesPerEU: 25
; Occupancy: 16
; WaveLimiterHint : 1
; COMPUTE_PGM_RSRC2:SCRATCH_EN: 0
; COMPUTE_PGM_RSRC2:USER_SGPR: 14
; COMPUTE_PGM_RSRC2:TRAP_HANDLER: 0
; COMPUTE_PGM_RSRC2:TGID_X_EN: 1
; COMPUTE_PGM_RSRC2:TGID_Y_EN: 1
; COMPUTE_PGM_RSRC2:TGID_Z_EN: 0
; COMPUTE_PGM_RSRC2:TIDIG_COMP_CNT: 1
	.text
	.p2alignl 7, 3214868480
	.fill 96, 4, 3214868480
	.type	__hip_cuid_3b7c1ff17e95c5af,@object ; @__hip_cuid_3b7c1ff17e95c5af
	.section	.bss,"aw",@nobits
	.globl	__hip_cuid_3b7c1ff17e95c5af
__hip_cuid_3b7c1ff17e95c5af:
	.byte	0                               ; 0x0
	.size	__hip_cuid_3b7c1ff17e95c5af, 1

	.ident	"AMD clang version 19.0.0git (https://github.com/RadeonOpenCompute/llvm-project roc-6.4.0 25133 c7fe45cf4b819c5991fe208aaa96edf142730f1d)"
	.section	".note.GNU-stack","",@progbits
	.addrsig
	.addrsig_sym __hip_cuid_3b7c1ff17e95c5af
	.amdgpu_metadata
---
amdhsa.kernels:
  - .args:
      - .actual_access:  read_only
        .address_space:  global
        .offset:         0
        .size:           8
        .value_kind:     global_buffer
      - .actual_access:  write_only
        .address_space:  global
        .offset:         8
        .size:           8
        .value_kind:     global_buffer
    .group_segment_fixed_size: 0
    .kernarg_segment_align: 8
    .kernarg_segment_size: 16
    .language:       OpenCL C
    .language_version:
      - 2
      - 0
    .max_flat_workgroup_size: 1024
    .name:           _Z24kernel_128_winograd_BtdBPKfPf
    .private_segment_fixed_size: 0
    .sgpr_count:     18
    .sgpr_spill_count: 0
    .symbol:         _Z24kernel_128_winograd_BtdBPKfPf.kd
    .uniform_work_group_size: 1
    .uses_dynamic_stack: false
    .vgpr_count:     26
    .vgpr_spill_count: 0
    .wavefront_size: 32
    .workgroup_processor_mode: 1
  - .args:
      - .actual_access:  read_only
        .address_space:  global
        .offset:         0
        .size:           8
        .value_kind:     global_buffer
      - .actual_access:  read_only
        .address_space:  global
        .offset:         8
        .size:           8
        .value_kind:     global_buffer
      - .actual_access:  read_only
        .address_space:  global
        .offset:         16
        .size:           8
        .value_kind:     global_buffer
      - .actual_access:  write_only
        .address_space:  global
        .offset:         24
        .size:           8
        .value_kind:     global_buffer
    .group_segment_fixed_size: 8
    .kernarg_segment_align: 8
    .kernarg_segment_size: 32
    .language:       OpenCL C
    .language_version:
      - 2
      - 0
    .max_flat_workgroup_size: 1024
    .name:           _Z24kernel_128_winograd_AtIAPKfS0_S0_Pf
    .private_segment_fixed_size: 0
    .sgpr_count:     18
    .sgpr_spill_count: 0
    .symbol:         _Z24kernel_128_winograd_AtIAPKfS0_S0_Pf.kd
    .uniform_work_group_size: 1
    .uses_dynamic_stack: false
    .vgpr_count:     10
    .vgpr_spill_count: 0
    .wavefront_size: 32
    .workgroup_processor_mode: 1
  - .args:
      - .actual_access:  read_only
        .address_space:  global
        .offset:         0
        .size:           8
        .value_kind:     global_buffer
      - .actual_access:  read_only
        .address_space:  global
        .offset:         8
        .size:           8
        .value_kind:     global_buffer
      - .actual_access:  write_only
        .address_space:  global
        .offset:         16
        .size:           8
        .value_kind:     global_buffer
    .group_segment_fixed_size: 0
    .kernarg_segment_align: 8
    .kernarg_segment_size: 24
    .language:       OpenCL C
    .language_version:
      - 2
      - 0
    .max_flat_workgroup_size: 1024
    .name:           _Z27kernel_128_OuterProduct_128PKfS0_Pf
    .private_segment_fixed_size: 0
    .sgpr_count:     18
    .sgpr_spill_count: 0
    .symbol:         _Z27kernel_128_OuterProduct_128PKfS0_Pf.kd
    .uniform_work_group_size: 1
    .uses_dynamic_stack: false
    .vgpr_count:     25
    .vgpr_spill_count: 0
    .wavefront_size: 32
    .workgroup_processor_mode: 1
amdhsa.target:   amdgcn-amd-amdhsa--gfx1100
amdhsa.version:
  - 1
  - 2
...

	.end_amdgpu_metadata
